;; amdgpu-corpus repo=ROCm/rocFFT kind=compiled arch=gfx1030 opt=O3
	.text
	.amdgcn_target "amdgcn-amd-amdhsa--gfx1030"
	.amdhsa_code_object_version 6
	.protected	fft_rtc_back_len3240_factors_3_3_10_6_6_wgs_108_tpt_108_halfLds_sp_op_CI_CI_unitstride_sbrr_dirReg ; -- Begin function fft_rtc_back_len3240_factors_3_3_10_6_6_wgs_108_tpt_108_halfLds_sp_op_CI_CI_unitstride_sbrr_dirReg
	.globl	fft_rtc_back_len3240_factors_3_3_10_6_6_wgs_108_tpt_108_halfLds_sp_op_CI_CI_unitstride_sbrr_dirReg
	.p2align	8
	.type	fft_rtc_back_len3240_factors_3_3_10_6_6_wgs_108_tpt_108_halfLds_sp_op_CI_CI_unitstride_sbrr_dirReg,@function
fft_rtc_back_len3240_factors_3_3_10_6_6_wgs_108_tpt_108_halfLds_sp_op_CI_CI_unitstride_sbrr_dirReg: ; @fft_rtc_back_len3240_factors_3_3_10_6_6_wgs_108_tpt_108_halfLds_sp_op_CI_CI_unitstride_sbrr_dirReg
; %bb.0:
	s_clause 0x2
	s_load_dwordx4 s[12:15], s[4:5], 0x0
	s_load_dwordx4 s[8:11], s[4:5], 0x58
	;; [unrolled: 1-line block ×3, first 2 shown]
	v_mul_u32_u24_e32 v1, 0x25f, v0
	v_mov_b32_e32 v7, 0
	v_mov_b32_e32 v5, 0
	;; [unrolled: 1-line block ×3, first 2 shown]
	v_add_nc_u32_sdwa v9, s6, v1 dst_sel:DWORD dst_unused:UNUSED_PAD src0_sel:DWORD src1_sel:WORD_1
	v_mov_b32_e32 v10, v7
	s_waitcnt lgkmcnt(0)
	v_cmp_lt_u64_e64 s0, s[14:15], 2
	s_and_b32 vcc_lo, exec_lo, s0
	s_cbranch_vccnz .LBB0_8
; %bb.1:
	s_load_dwordx2 s[0:1], s[4:5], 0x10
	v_mov_b32_e32 v5, 0
	v_mov_b32_e32 v6, 0
	s_add_u32 s2, s18, 8
	s_addc_u32 s3, s19, 0
	v_mov_b32_e32 v1, v5
	s_add_u32 s6, s16, 8
	v_mov_b32_e32 v2, v6
	s_addc_u32 s7, s17, 0
	s_mov_b64 s[22:23], 1
	s_waitcnt lgkmcnt(0)
	s_add_u32 s20, s0, 8
	s_addc_u32 s21, s1, 0
.LBB0_2:                                ; =>This Inner Loop Header: Depth=1
	s_load_dwordx2 s[24:25], s[20:21], 0x0
                                        ; implicit-def: $vgpr3_vgpr4
	s_mov_b32 s0, exec_lo
	s_waitcnt lgkmcnt(0)
	v_or_b32_e32 v8, s25, v10
	v_cmpx_ne_u64_e32 0, v[7:8]
	s_xor_b32 s1, exec_lo, s0
	s_cbranch_execz .LBB0_4
; %bb.3:                                ;   in Loop: Header=BB0_2 Depth=1
	v_cvt_f32_u32_e32 v3, s24
	v_cvt_f32_u32_e32 v4, s25
	s_sub_u32 s0, 0, s24
	s_subb_u32 s26, 0, s25
	v_fmac_f32_e32 v3, 0x4f800000, v4
	v_rcp_f32_e32 v3, v3
	v_mul_f32_e32 v3, 0x5f7ffffc, v3
	v_mul_f32_e32 v4, 0x2f800000, v3
	v_trunc_f32_e32 v4, v4
	v_fmac_f32_e32 v3, 0xcf800000, v4
	v_cvt_u32_f32_e32 v4, v4
	v_cvt_u32_f32_e32 v3, v3
	v_mul_lo_u32 v8, s0, v4
	v_mul_hi_u32 v11, s0, v3
	v_mul_lo_u32 v12, s26, v3
	v_add_nc_u32_e32 v8, v11, v8
	v_mul_lo_u32 v11, s0, v3
	v_add_nc_u32_e32 v8, v8, v12
	v_mul_hi_u32 v12, v3, v11
	v_mul_lo_u32 v13, v3, v8
	v_mul_hi_u32 v14, v3, v8
	v_mul_hi_u32 v15, v4, v11
	v_mul_lo_u32 v11, v4, v11
	v_mul_hi_u32 v16, v4, v8
	v_mul_lo_u32 v8, v4, v8
	v_add_co_u32 v12, vcc_lo, v12, v13
	v_add_co_ci_u32_e32 v13, vcc_lo, 0, v14, vcc_lo
	v_add_co_u32 v11, vcc_lo, v12, v11
	v_add_co_ci_u32_e32 v11, vcc_lo, v13, v15, vcc_lo
	v_add_co_ci_u32_e32 v12, vcc_lo, 0, v16, vcc_lo
	v_add_co_u32 v8, vcc_lo, v11, v8
	v_add_co_ci_u32_e32 v11, vcc_lo, 0, v12, vcc_lo
	v_add_co_u32 v3, vcc_lo, v3, v8
	v_add_co_ci_u32_e32 v4, vcc_lo, v4, v11, vcc_lo
	v_mul_hi_u32 v8, s0, v3
	v_mul_lo_u32 v12, s26, v3
	v_mul_lo_u32 v11, s0, v4
	v_add_nc_u32_e32 v8, v8, v11
	v_mul_lo_u32 v11, s0, v3
	v_add_nc_u32_e32 v8, v8, v12
	v_mul_hi_u32 v12, v3, v11
	v_mul_lo_u32 v13, v3, v8
	v_mul_hi_u32 v14, v3, v8
	v_mul_hi_u32 v15, v4, v11
	v_mul_lo_u32 v11, v4, v11
	v_mul_hi_u32 v16, v4, v8
	v_mul_lo_u32 v8, v4, v8
	v_add_co_u32 v12, vcc_lo, v12, v13
	v_add_co_ci_u32_e32 v13, vcc_lo, 0, v14, vcc_lo
	v_add_co_u32 v11, vcc_lo, v12, v11
	v_add_co_ci_u32_e32 v11, vcc_lo, v13, v15, vcc_lo
	v_add_co_ci_u32_e32 v12, vcc_lo, 0, v16, vcc_lo
	v_add_co_u32 v8, vcc_lo, v11, v8
	v_add_co_ci_u32_e32 v11, vcc_lo, 0, v12, vcc_lo
	v_add_co_u32 v8, vcc_lo, v3, v8
	v_add_co_ci_u32_e32 v13, vcc_lo, v4, v11, vcc_lo
	v_mul_hi_u32 v15, v9, v8
	v_mad_u64_u32 v[11:12], null, v10, v8, 0
	v_mad_u64_u32 v[3:4], null, v9, v13, 0
	;; [unrolled: 1-line block ×3, first 2 shown]
	v_add_co_u32 v3, vcc_lo, v15, v3
	v_add_co_ci_u32_e32 v4, vcc_lo, 0, v4, vcc_lo
	v_add_co_u32 v3, vcc_lo, v3, v11
	v_add_co_ci_u32_e32 v3, vcc_lo, v4, v12, vcc_lo
	v_add_co_ci_u32_e32 v4, vcc_lo, 0, v14, vcc_lo
	v_add_co_u32 v8, vcc_lo, v3, v13
	v_add_co_ci_u32_e32 v11, vcc_lo, 0, v4, vcc_lo
	v_mul_lo_u32 v12, s25, v8
	v_mad_u64_u32 v[3:4], null, s24, v8, 0
	v_mul_lo_u32 v13, s24, v11
	v_sub_co_u32 v3, vcc_lo, v9, v3
	v_add3_u32 v4, v4, v13, v12
	v_sub_nc_u32_e32 v12, v10, v4
	v_subrev_co_ci_u32_e64 v12, s0, s25, v12, vcc_lo
	v_add_co_u32 v13, s0, v8, 2
	v_add_co_ci_u32_e64 v14, s0, 0, v11, s0
	v_sub_co_u32 v15, s0, v3, s24
	v_sub_co_ci_u32_e32 v4, vcc_lo, v10, v4, vcc_lo
	v_subrev_co_ci_u32_e64 v12, s0, 0, v12, s0
	v_cmp_le_u32_e32 vcc_lo, s24, v15
	v_cmp_eq_u32_e64 s0, s25, v4
	v_cndmask_b32_e64 v15, 0, -1, vcc_lo
	v_cmp_le_u32_e32 vcc_lo, s25, v12
	v_cndmask_b32_e64 v16, 0, -1, vcc_lo
	v_cmp_le_u32_e32 vcc_lo, s24, v3
	;; [unrolled: 2-line block ×3, first 2 shown]
	v_cndmask_b32_e64 v17, 0, -1, vcc_lo
	v_cmp_eq_u32_e32 vcc_lo, s25, v12
	v_cndmask_b32_e64 v3, v17, v3, s0
	v_cndmask_b32_e32 v12, v16, v15, vcc_lo
	v_add_co_u32 v15, vcc_lo, v8, 1
	v_add_co_ci_u32_e32 v16, vcc_lo, 0, v11, vcc_lo
	v_cmp_ne_u32_e32 vcc_lo, 0, v12
	v_cndmask_b32_e32 v4, v16, v14, vcc_lo
	v_cndmask_b32_e32 v12, v15, v13, vcc_lo
	v_cmp_ne_u32_e32 vcc_lo, 0, v3
	v_cndmask_b32_e32 v4, v11, v4, vcc_lo
	v_cndmask_b32_e32 v3, v8, v12, vcc_lo
.LBB0_4:                                ;   in Loop: Header=BB0_2 Depth=1
	s_andn2_saveexec_b32 s0, s1
	s_cbranch_execz .LBB0_6
; %bb.5:                                ;   in Loop: Header=BB0_2 Depth=1
	v_cvt_f32_u32_e32 v3, s24
	s_sub_i32 s1, 0, s24
	v_rcp_iflag_f32_e32 v3, v3
	v_mul_f32_e32 v3, 0x4f7ffffe, v3
	v_cvt_u32_f32_e32 v3, v3
	v_mul_lo_u32 v4, s1, v3
	v_mul_hi_u32 v4, v3, v4
	v_add_nc_u32_e32 v3, v3, v4
	v_mul_hi_u32 v3, v9, v3
	v_mul_lo_u32 v4, v3, s24
	v_add_nc_u32_e32 v8, 1, v3
	v_sub_nc_u32_e32 v4, v9, v4
	v_subrev_nc_u32_e32 v11, s24, v4
	v_cmp_le_u32_e32 vcc_lo, s24, v4
	v_cndmask_b32_e32 v4, v4, v11, vcc_lo
	v_cndmask_b32_e32 v3, v3, v8, vcc_lo
	v_cmp_le_u32_e32 vcc_lo, s24, v4
	v_add_nc_u32_e32 v8, 1, v3
	v_mov_b32_e32 v4, v7
	v_cndmask_b32_e32 v3, v3, v8, vcc_lo
.LBB0_6:                                ;   in Loop: Header=BB0_2 Depth=1
	s_or_b32 exec_lo, exec_lo, s0
	v_mul_lo_u32 v8, v4, s24
	v_mul_lo_u32 v13, v3, s25
	s_load_dwordx2 s[0:1], s[6:7], 0x0
	v_mad_u64_u32 v[11:12], null, v3, s24, 0
	s_load_dwordx2 s[24:25], s[2:3], 0x0
	s_add_u32 s22, s22, 1
	s_addc_u32 s23, s23, 0
	s_add_u32 s2, s2, 8
	s_addc_u32 s3, s3, 0
	s_add_u32 s6, s6, 8
	v_add3_u32 v8, v12, v13, v8
	v_sub_co_u32 v9, vcc_lo, v9, v11
	s_addc_u32 s7, s7, 0
	s_add_u32 s20, s20, 8
	v_sub_co_ci_u32_e32 v8, vcc_lo, v10, v8, vcc_lo
	s_addc_u32 s21, s21, 0
	s_waitcnt lgkmcnt(0)
	v_mul_lo_u32 v10, s0, v8
	v_mul_lo_u32 v11, s1, v9
	v_mad_u64_u32 v[5:6], null, s0, v9, v[5:6]
	v_mul_lo_u32 v8, s24, v8
	v_mul_lo_u32 v12, s25, v9
	v_mad_u64_u32 v[1:2], null, s24, v9, v[1:2]
	v_cmp_ge_u64_e64 s0, s[22:23], s[14:15]
	v_add3_u32 v6, v11, v6, v10
	v_add3_u32 v2, v12, v2, v8
	s_and_b32 vcc_lo, exec_lo, s0
	s_cbranch_vccnz .LBB0_9
; %bb.7:                                ;   in Loop: Header=BB0_2 Depth=1
	v_mov_b32_e32 v10, v4
	v_mov_b32_e32 v9, v3
	s_branch .LBB0_2
.LBB0_8:
	v_mov_b32_e32 v1, v5
	v_mov_b32_e32 v3, v9
	;; [unrolled: 1-line block ×4, first 2 shown]
.LBB0_9:
	s_load_dwordx2 s[0:1], s[4:5], 0x28
	v_mul_hi_u32 v8, 0x25ed098, v0
	s_lshl_b64 s[4:5], s[14:15], 3
                                        ; implicit-def: $vgpr90
	s_add_u32 s2, s18, s4
	s_addc_u32 s3, s19, s5
	s_waitcnt lgkmcnt(0)
	v_cmp_gt_u64_e32 vcc_lo, s[0:1], v[3:4]
	v_cmp_le_u64_e64 s0, s[0:1], v[3:4]
	s_and_saveexec_b32 s1, s0
	s_xor_b32 s0, exec_lo, s1
; %bb.10:
	v_mul_u32_u24_e32 v5, 0x6c, v8
                                        ; implicit-def: $vgpr8
	v_sub_nc_u32_e32 v90, v0, v5
                                        ; implicit-def: $vgpr0
                                        ; implicit-def: $vgpr5_vgpr6
; %bb.11:
	s_or_saveexec_b32 s1, s0
                                        ; implicit-def: $vgpr61
                                        ; implicit-def: $vgpr59
                                        ; implicit-def: $vgpr23
                                        ; implicit-def: $vgpr65
                                        ; implicit-def: $vgpr69
                                        ; implicit-def: $vgpr27
                                        ; implicit-def: $vgpr75
                                        ; implicit-def: $vgpr49
                                        ; implicit-def: $vgpr17
                                        ; implicit-def: $vgpr47
                                        ; implicit-def: $vgpr53
                                        ; implicit-def: $vgpr21
                                        ; implicit-def: $vgpr51
                                        ; implicit-def: $vgpr57
                                        ; implicit-def: $vgpr25
                                        ; implicit-def: $vgpr39
                                        ; implicit-def: $vgpr45
                                        ; implicit-def: $vgpr19
                                        ; implicit-def: $vgpr41
                                        ; implicit-def: $vgpr43
                                        ; implicit-def: $vgpr35
                                        ; implicit-def: $vgpr63
                                        ; implicit-def: $vgpr55
                                        ; implicit-def: $vgpr33
                                        ; implicit-def: $vgpr9
                                        ; implicit-def: $vgpr7
                                        ; implicit-def: $vgpr31
                                        ; implicit-def: $vgpr89
                                        ; implicit-def: $vgpr37
                                        ; implicit-def: $vgpr29
	s_xor_b32 exec_lo, exec_lo, s1
	s_cbranch_execz .LBB0_13
; %bb.12:
	s_add_u32 s4, s16, s4
	s_addc_u32 s5, s17, s5
	v_lshlrev_b64 v[5:6], 3, v[5:6]
	s_load_dwordx2 s[4:5], s[4:5], 0x0
	s_waitcnt lgkmcnt(0)
	v_mul_lo_u32 v7, s5, v3
	v_mul_lo_u32 v11, s4, v4
	v_mad_u64_u32 v[9:10], null, s4, v3, 0
	v_add3_u32 v10, v10, v11, v7
	v_mul_u32_u24_e32 v11, 0x6c, v8
	v_lshlrev_b64 v[7:8], 3, v[9:10]
	v_sub_nc_u32_e32 v90, v0, v11
	v_add_co_u32 v0, s0, s8, v7
	v_add_co_ci_u32_e64 v7, s0, s9, v8, s0
	v_lshlrev_b32_e32 v8, 3, v90
	v_add_co_u32 v0, s0, v0, v5
	v_add_co_ci_u32_e64 v5, s0, v7, v6, s0
	v_add_co_u32 v8, s0, v0, v8
	v_add_co_ci_u32_e64 v9, s0, 0, v5, s0
	s_clause 0x1
	global_load_dwordx2 v[28:29], v[8:9], off
	global_load_dwordx2 v[30:31], v[8:9], off offset:864
	v_add_co_u32 v10, s0, 0x2000, v8
	v_add_co_ci_u32_e64 v11, s0, 0, v9, s0
	v_add_co_u32 v12, s0, 0x4000, v8
	v_add_co_ci_u32_e64 v13, s0, 0, v9, s0
	;; [unrolled: 2-line block ×6, first 2 shown]
	s_clause 0xa
	global_load_dwordx2 v[6:7], v[10:11], off offset:1312
	global_load_dwordx2 v[36:37], v[10:11], off offset:448
	;; [unrolled: 1-line block ×11, first 2 shown]
	v_add_co_u32 v10, s0, 0x1000, v8
	v_add_co_ci_u32_e64 v11, s0, 0, v9, s0
	v_add_co_u32 v14, s0, 0x3000, v8
	v_add_co_ci_u32_e64 v15, s0, 0, v9, s0
	v_add_co_u32 v58, s0, 0x3800, v8
	v_add_co_ci_u32_e64 v59, s0, 0, v9, s0
	s_clause 0x7
	global_load_dwordx2 v[50:51], v[22:23], off offset:1120
	global_load_dwordx2 v[20:21], v[10:11], off offset:1088
	;; [unrolled: 1-line block ×8, first 2 shown]
	v_add_co_u32 v10, s0, 0x5800, v8
	v_add_co_ci_u32_e64 v11, s0, 0, v9, s0
	v_add_co_u32 v14, s0, 0x1800, v8
	v_add_co_ci_u32_e64 v15, s0, 0, v9, s0
	;; [unrolled: 2-line block ×3, first 2 shown]
	s_clause 0x8
	global_load_dwordx2 v[26:27], v[14:15], off offset:768
	global_load_dwordx2 v[64:65], v[10:11], off offset:1664
	;; [unrolled: 1-line block ×9, first 2 shown]
.LBB0_13:
	s_or_b32 exec_lo, exec_lo, s1
	s_waitcnt vmcnt(3)
	v_add_f32_e32 v0, v88, v36
	v_add_f32_e32 v5, v36, v28
	v_sub_f32_e32 v10, v37, v89
	v_add_f32_e32 v11, v8, v6
	v_add_f32_e32 v14, v62, v54
	v_fmac_f32_e32 v28, -0.5, v0
	v_add_f32_e32 v0, v6, v30
	v_sub_f32_e32 v12, v7, v9
	v_fmac_f32_e32 v30, -0.5, v11
	v_sub_f32_e32 v106, v6, v8
	v_fmamk_f32 v11, v10, 0xbf5db3d7, v28
	v_fmac_f32_e32 v28, 0x3f5db3d7, v10
	v_add_f32_e32 v10, v7, v31
	v_add_f32_e32 v7, v9, v7
	;; [unrolled: 1-line block ×3, first 2 shown]
	v_fmamk_f32 v13, v12, 0xbf5db3d7, v30
	v_fmac_f32_e32 v30, 0x3f5db3d7, v12
	v_add_f32_e32 v105, v9, v10
	v_add_f32_e32 v9, v54, v32
	v_fmac_f32_e32 v32, -0.5, v14
	v_sub_f32_e32 v10, v55, v63
	v_fmac_f32_e32 v31, -0.5, v7
	v_add_f32_e32 v7, v40, v42
	v_add_f32_e32 v6, v62, v9
	;; [unrolled: 1-line block ×3, first 2 shown]
	v_fmamk_f32 v8, v10, 0xbf5db3d7, v32
	v_fmac_f32_e32 v32, 0x3f5db3d7, v10
	v_add_f32_e32 v10, v38, v44
	v_fmac_f32_e32 v34, -0.5, v7
	v_sub_f32_e32 v7, v43, v41
	v_add_f32_e32 v12, v44, v18
	v_mad_u32_u24 v107, v90, 12, 0
	v_fmac_f32_e32 v18, -0.5, v10
	v_sub_f32_e32 v10, v45, v39
	v_fmamk_f32 v14, v7, 0xbf5db3d7, v34
	v_fmac_f32_e32 v34, 0x3f5db3d7, v7
	v_add_f32_e32 v7, v38, v12
	v_add_f32_e32 v12, v50, v56
	v_fmamk_f32 v15, v10, 0xbf5db3d7, v18
	v_fmac_f32_e32 v18, 0x3f5db3d7, v10
	v_add_f32_e32 v10, v46, v52
	v_add_f32_e32 v5, v88, v5
	;; [unrolled: 1-line block ×3, first 2 shown]
	v_fmac_f32_e32 v24, -0.5, v12
	v_sub_f32_e32 v12, v57, v51
	v_add_f32_e32 v67, v52, v20
	v_fmac_f32_e32 v20, -0.5, v10
	v_sub_f32_e32 v10, v53, v47
	v_add_nc_u32_e32 v109, 0xa20, v107
	v_add_f32_e32 v9, v40, v9
	v_fmamk_f32 v70, v12, 0xbf5db3d7, v24
	v_fmac_f32_e32 v24, 0x3f5db3d7, v12
	v_add_f32_e32 v12, v74, v48
	v_fmamk_f32 v71, v10, 0xbf5db3d7, v20
	v_fmac_f32_e32 v20, 0x3f5db3d7, v10
	v_add_f32_e32 v10, v48, v16
	v_add_nc_u32_e32 v108, 0x510, v107
	ds_write2_b32 v107, v5, v11 offset1:1
	v_add_f32_e32 v5, v64, v68
	v_add_nc_u32_e32 v110, 0xf30, v107
	ds_write2_b32 v109, v6, v8 offset1:1
	s_waitcnt vmcnt(0)
	v_add_f32_e32 v6, v60, v58
	v_fmac_f32_e32 v16, -0.5, v12
	v_sub_f32_e32 v11, v49, v75
	ds_write2_b32 v108, v0, v13 offset1:1
	v_add_f32_e32 v0, v68, v26
	v_fmac_f32_e32 v26, -0.5, v5
	v_add_f32_e32 v5, v74, v10
	ds_write2_b32 v110, v9, v14 offset1:1
	v_sub_f32_e32 v9, v69, v65
	v_add_f32_e32 v10, v58, v22
	v_fmac_f32_e32 v22, -0.5, v6
	v_sub_f32_e32 v6, v59, v61
	v_add_nc_u32_e32 v111, 0x1440, v107
	v_add_f32_e32 v66, v50, v66
	v_add_f32_e32 v12, v46, v67
	s_load_dwordx2 s[2:3], s[2:3], 0x0
	ds_write_b32 v107, v28 offset:8
	ds_write_b32 v107, v30 offset:1304
	;; [unrolled: 1-line block ×3, first 2 shown]
	ds_write2_b32 v111, v7, v15 offset1:1
	v_add_nc_u32_e32 v28, 0x1954, v107
	v_add_nc_u32_e32 v30, 0x1e64, v107
	v_fmamk_f32 v8, v11, 0xbf5db3d7, v16
	v_fmac_f32_e32 v16, 0x3f5db3d7, v11
	v_add_f32_e32 v0, v64, v0
	v_fmamk_f32 v11, v9, 0xbf5db3d7, v26
	v_fmac_f32_e32 v26, 0x3f5db3d7, v9
	v_fmamk_f32 v9, v6, 0xbf5db3d7, v22
	v_fmac_f32_e32 v22, 0x3f5db3d7, v6
	v_add_nc_u32_e32 v32, 0x2d94, v107
	ds_write_b32 v107, v34 offset:3896
	ds_write_b32 v107, v18 offset:5192
	;; [unrolled: 1-line block ×3, first 2 shown]
	ds_write2_b32 v28, v70, v24 offset1:1
	v_add_nc_u32_e32 v24, 0x2374, v107
	ds_write_b32 v107, v12 offset:7776
	ds_write2_b32 v30, v71, v20 offset1:1
	v_add_nc_u32_e32 v20, 0x2884, v107
	v_add_f32_e32 v6, v60, v10
	ds_write_b32 v107, v5 offset:9072
	ds_write2_b32 v24, v8, v16 offset1:1
	ds_write_b32 v107, v0 offset:10368
	ds_write2_b32 v20, v11, v26 offset1:1
	;; [unrolled: 2-line block ×3, first 2 shown]
	v_add_f32_e32 v22, v63, v55
	v_add_f32_e32 v18, v55, v33
	v_sub_f32_e32 v34, v54, v62
	v_add_f32_e32 v54, v41, v43
	v_sub_f32_e32 v40, v42, v40
	v_fmac_f32_e32 v33, -0.5, v22
	v_add_f32_e32 v22, v43, v35
	v_add_f32_e32 v43, v39, v45
	v_add_f32_e32 v42, v45, v19
	v_sub_f32_e32 v38, v44, v38
	v_lshl_add_u32 v0, v90, 2, 0
	v_fmac_f32_e32 v35, -0.5, v54
	v_fmac_f32_e32 v19, -0.5, v43
	v_fmamk_f32 v26, v106, 0x3f5db3d7, v31
	v_add_f32_e32 v39, v39, v42
	v_add_nc_u32_e32 v91, 0x1000, v0
	v_add_f32_e32 v18, v63, v18
	v_fmamk_f32 v42, v38, 0x3f5db3d7, v19
	v_fmamk_f32 v43, v34, 0x3f5db3d7, v33
	v_add_nc_u32_e32 v92, 0x2000, v0
	v_add_f32_e32 v22, v41, v22
	v_fmamk_f32 v41, v40, 0x3f5db3d7, v35
	v_add_nc_u32_e32 v93, 0x200, v0
	v_add_nc_u32_e32 v94, 0x1400, v0
	s_waitcnt lgkmcnt(0)
	s_barrier
	buffer_gl0_inv
	v_add_nc_u32_e32 v95, 0x2400, v0
	v_add_nc_u32_e32 v96, 0x600, v0
	;; [unrolled: 1-line block ×10, first 2 shown]
	ds_read2_b32 v[13:14], v0 offset1:108
	ds_read2_b32 v[72:73], v91 offset0:56 offset1:164
	ds_read2_b32 v[70:71], v92 offset0:112 offset1:220
	;; [unrolled: 1-line block ×14, first 2 shown]
	s_waitcnt lgkmcnt(0)
	s_barrier
	buffer_gl0_inv
	ds_write2_b32 v108, v105, v26 offset1:1
	ds_write2_b32 v109, v18, v43 offset1:1
	;; [unrolled: 1-line block ×4, first 2 shown]
	v_add_f32_e32 v22, v89, v37
	v_add_f32_e32 v42, v47, v53
	;; [unrolled: 1-line block ×4, first 2 shown]
	v_sub_f32_e32 v26, v36, v88
	v_add_f32_e32 v36, v57, v25
	v_add_f32_e32 v41, v53, v21
	v_sub_f32_e32 v43, v52, v46
	v_add_f32_e32 v45, v75, v49
	v_fmac_f32_e32 v29, -0.5, v22
	v_fmac_f32_e32 v31, 0xbf5db3d7, v106
	v_fmac_f32_e32 v21, -0.5, v42
	v_add_f32_e32 v37, v51, v57
	v_sub_f32_e32 v46, v48, v74
	v_add_f32_e32 v48, v75, v44
	v_add_f32_e32 v44, v65, v69
	;; [unrolled: 1-line block ×3, first 2 shown]
	v_sub_f32_e32 v39, v56, v50
	v_add_f32_e32 v36, v51, v36
	v_add_f32_e32 v49, v59, v23
	;; [unrolled: 1-line block ×3, first 2 shown]
	v_fmamk_f32 v51, v26, 0x3f5db3d7, v29
	v_fmac_f32_e32 v33, 0xbf5db3d7, v34
	ds_write_b32 v107, v31 offset:1304
	v_fmac_f32_e32 v19, 0xbf5db3d7, v38
	v_fmamk_f32 v31, v43, 0x3f5db3d7, v21
	v_fmac_f32_e32 v21, 0xbf5db3d7, v43
	v_fmac_f32_e32 v17, -0.5, v45
	v_add_nc_u32_e32 v43, 0xd8, v90
	v_mov_b32_e32 v38, 0xaaab
	v_add_f32_e32 v41, v47, v41
	v_add_f32_e32 v47, v69, v27
	v_fmac_f32_e32 v29, 0xbf5db3d7, v26
	v_fmac_f32_e32 v25, -0.5, v37
	v_sub_f32_e32 v22, v68, v64
	v_fmac_f32_e32 v27, -0.5, v44
	v_sub_f32_e32 v52, v58, v60
	v_add_f32_e32 v26, v61, v49
	ds_write2_b32 v107, v18, v51 offset1:1
	v_fmac_f32_e32 v35, 0xbf5db3d7, v40
	ds_write_b32 v107, v33 offset:2600
	v_fmamk_f32 v33, v46, 0x3f5db3d7, v17
	v_fmac_f32_e32 v23, -0.5, v50
	v_mul_u32_u24_sdwa v18, v43, v38 dst_sel:DWORD dst_unused:UNUSED_PAD src0_sel:WORD_0 src1_sel:DWORD
	v_fmac_f32_e32 v17, 0xbf5db3d7, v46
	v_add_nc_u32_e32 v44, 0x144, v90
	v_add_f32_e32 v47, v65, v47
	ds_write_b32 v107, v29 offset:8
	v_fmamk_f32 v29, v39, 0x3f5db3d7, v25
	v_fmac_f32_e32 v25, 0xbf5db3d7, v39
	v_fmamk_f32 v34, v22, 0x3f5db3d7, v27
	v_fmac_f32_e32 v27, 0xbf5db3d7, v22
	ds_write_b32 v107, v35 offset:3896
	ds_write_b32 v107, v19 offset:5192
	v_fmamk_f32 v22, v52, 0x3f5db3d7, v23
	v_lshrrev_b32_e32 v18, 17, v18
	v_fmac_f32_e32 v23, 0xbf5db3d7, v52
	ds_write_b32 v107, v36 offset:6480
	ds_write2_b32 v28, v29, v25 offset1:1
	ds_write_b32 v107, v41 offset:7776
	ds_write2_b32 v30, v31, v21 offset1:1
	ds_write_b32 v107, v48 offset:9072
	v_mul_u32_u24_sdwa v21, v44, v38 dst_sel:DWORD dst_unused:UNUSED_PAD src0_sel:WORD_0 src1_sel:DWORD
	ds_write2_b32 v24, v33, v17 offset1:1
	ds_write_b32 v107, v47 offset:10368
	ds_write2_b32 v20, v34, v27 offset1:1
	ds_write_b32 v107, v26 offset:11664
	v_add_nc_u32_e32 v41, 0x1b0, v90
	v_add_nc_u32_e32 v26, 0x21c, v90
	v_mul_lo_u16 v19, v18, 3
	v_lshrrev_b32_e32 v17, 17, v21
	ds_write2_b32 v32, v22, v23 offset1:1
	v_mul_u32_u24_sdwa v21, v41, v38 dst_sel:DWORD dst_unused:UNUSED_PAD src0_sel:WORD_0 src1_sel:DWORD
	v_add_nc_u32_e32 v27, 0x288, v90
	v_mul_u32_u24_sdwa v22, v26, v38 dst_sel:DWORD dst_unused:UNUSED_PAD src0_sel:WORD_0 src1_sel:DWORD
	v_mov_b32_e32 v28, 4
	v_sub_nc_u16 v19, v43, v19
	v_lshrrev_b32_e32 v21, 17, v21
	v_add_nc_u32_e32 v39, 0x2f4, v90
	v_mul_u32_u24_sdwa v24, v27, v38 dst_sel:DWORD dst_unused:UNUSED_PAD src0_sel:WORD_0 src1_sel:DWORD
	v_lshrrev_b32_e32 v23, 17, v22
	v_lshlrev_b32_sdwa v25, v28, v19 dst_sel:DWORD dst_unused:UNUSED_PAD src0_sel:DWORD src1_sel:WORD_0
	v_mul_lo_u16 v22, v21, 3
	v_mul_u32_u24_sdwa v30, v39, v38 dst_sel:DWORD dst_unused:UNUSED_PAD src0_sel:WORD_0 src1_sel:DWORD
	v_lshrrev_b32_e32 v24, 17, v24
	v_mul_lo_u16 v35, v23, 3
	s_waitcnt lgkmcnt(0)
	s_barrier
	buffer_gl0_inv
	v_sub_nc_u16 v29, v41, v22
	v_lshrrev_b32_e32 v22, 17, v30
	global_load_dwordx4 v[30:33], v25, s[12:13]
	v_mul_lo_u16 v40, v24, 3
	v_sub_nc_u16 v25, v26, v35
	v_mul_lo_u16 v20, v17, 3
	v_lshlrev_b32_sdwa v26, v28, v29 dst_sel:DWORD dst_unused:UNUSED_PAD src0_sel:DWORD src1_sel:WORD_0
	v_mul_lo_u16 v42, v22, 3
	v_sub_nc_u16 v40, v27, v40
	v_lshlrev_b32_sdwa v27, v28, v25 dst_sel:DWORD dst_unused:UNUSED_PAD src0_sel:DWORD src1_sel:WORD_0
	v_sub_nc_u16 v20, v44, v20
	global_load_dwordx4 v[105:108], v26, s[12:13]
	v_and_b32_e32 v47, 0xff, v90
	v_add_nc_u16 v45, v90, 0x6c
	global_load_dwordx4 v[109:112], v27, s[12:13]
	v_sub_nc_u16 v26, v39, v42
	v_lshlrev_b32_sdwa v34, v28, v20 dst_sel:DWORD dst_unused:UNUSED_PAD src0_sel:DWORD src1_sel:WORD_0
	v_lshlrev_b32_sdwa v39, v28, v40 dst_sel:DWORD dst_unused:UNUSED_PAD src0_sel:DWORD src1_sel:WORD_0
	v_and_b32_e32 v46, 0xff, v45
	v_add_nc_u32_e32 v42, 0x360, v90
	v_lshlrev_b32_sdwa v27, v28, v26 dst_sel:DWORD dst_unused:UNUSED_PAD src0_sel:DWORD src1_sel:WORD_0
	s_clause 0x1
	global_load_dwordx4 v[34:37], v34, s[12:13]
	global_load_dwordx4 v[113:116], v39, s[12:13]
	v_add_nc_u32_e32 v48, 0x3cc, v90
	v_mul_u32_u24_e32 v18, 36, v18
	global_load_dwordx4 v[117:120], v27, s[12:13]
	v_mul_lo_u16 v27, 0xab, v47
	v_mul_u32_u24_e32 v17, 36, v17
	v_mul_lo_u16 v47, v47, 57
	v_cmp_gt_u32_e64 s0, 0x5a, v90
	v_lshrrev_b16 v145, 9, v27
	v_mul_lo_u16 v27, 0xab, v46
	v_mul_lo_u16 v39, v145, 3
	v_lshrrev_b16 v146, 9, v27
	v_mul_u32_u24_sdwa v27, v42, v38 dst_sel:DWORD dst_unused:UNUSED_PAD src0_sel:WORD_0 src1_sel:DWORD
	v_sub_nc_u16 v147, v90, v39
	v_mul_lo_u16 v39, v146, 3
	v_lshrrev_b32_e32 v148, 17, v27
	v_mul_u32_u24_sdwa v27, v48, v38 dst_sel:DWORD dst_unused:UNUSED_PAD src0_sel:WORD_0 src1_sel:DWORD
	v_lshlrev_b32_sdwa v49, v28, v147 dst_sel:DWORD dst_unused:UNUSED_PAD src0_sel:DWORD src1_sel:BYTE_0
	v_sub_nc_u16 v149, v45, v39
	v_mul_lo_u16 v38, v148, 3
	v_lshrrev_b32_e32 v150, 17, v27
	global_load_dwordx4 v[121:124], v49, s[12:13]
	v_lshlrev_b32_sdwa v27, v28, v149 dst_sel:DWORD dst_unused:UNUSED_PAD src0_sel:DWORD src1_sel:BYTE_0
	v_sub_nc_u16 v151, v42, v38
	v_mul_lo_u16 v38, v150, 3
	global_load_dwordx4 v[125:128], v27, s[12:13]
	v_lshlrev_b32_sdwa v27, v28, v151 dst_sel:DWORD dst_unused:UNUSED_PAD src0_sel:DWORD src1_sel:WORD_0
	v_sub_nc_u16 v152, v48, v38
	global_load_dwordx4 v[129:132], v27, s[12:13]
	v_lshlrev_b32_sdwa v27, v28, v152 dst_sel:DWORD dst_unused:UNUSED_PAD src0_sel:DWORD src1_sel:WORD_0
	global_load_dwordx4 v[133:136], v27, s[12:13]
	ds_read2_b32 v[27:28], v94 offset0:16 offset1:124
	ds_read2_b32 v[38:39], v95 offset0:72 offset1:180
	;; [unrolled: 1-line block ×9, first 2 shown]
	s_waitcnt vmcnt(9) lgkmcnt(8)
	v_mul_f32_e32 v63, v27, v31
	v_mul_f32_e32 v31, v86, v31
	s_waitcnt lgkmcnt(7)
	v_mul_f32_e32 v68, v38, v33
	v_mul_f32_e32 v33, v84, v33
	v_fmac_f32_e32 v63, v86, v30
	v_fma_f32 v86, v27, v30, -v31
	v_fmac_f32_e32 v68, v84, v32
	v_fma_f32 v84, v38, v32, -v33
	s_waitcnt vmcnt(8) lgkmcnt(6)
	v_mul_f32_e32 v55, v59, v106
	v_mul_f32_e32 v42, v82, v106
	s_waitcnt lgkmcnt(5)
	v_mul_f32_e32 v56, v64, v108
	s_waitcnt vmcnt(7)
	v_mul_f32_e32 v53, v60, v110
	v_mul_f32_e32 v57, v83, v110
	;; [unrolled: 1-line block ×5, first 2 shown]
	v_fmac_f32_e32 v53, v83, v109
	v_fma_f32 v74, v60, v109, -v57
	s_waitcnt vmcnt(6)
	v_mul_f32_e32 v58, v28, v35
	v_mul_f32_e32 v35, v87, v35
	s_waitcnt vmcnt(5)
	v_mul_f32_e32 v69, v78, v114
	v_mul_f32_e32 v61, v39, v37
	s_waitcnt vmcnt(4)
	v_mul_f32_e32 v30, v77, v120
	v_fmac_f32_e32 v58, v87, v34
	v_fma_f32 v87, v28, v34, -v35
	ds_read2_b32 v[27:28], v104 offset0:80 offset1:188
	v_mul_f32_e32 v37, v85, v37
	v_mul_f32_e32 v108, v79, v118
	v_fma_f32 v65, v65, v111, -v62
	s_waitcnt lgkmcnt(5)
	v_fma_f32 v62, v88, v113, -v69
	s_waitcnt lgkmcnt(4)
	v_fma_f32 v60, v138, v119, -v30
	v_mul_f32_e32 v48, v88, v114
	v_mul_f32_e32 v49, v89, v118
	v_fmac_f32_e32 v61, v85, v36
	v_fma_f32 v85, v39, v36, -v37
	v_fmac_f32_e32 v55, v82, v105
	v_fma_f32 v82, v59, v105, -v42
	v_fma_f32 v75, v64, v107, -v50
	;; [unrolled: 1-line block ×3, first 2 shown]
	v_mov_b32_e32 v42, 2
	v_mul_f32_e32 v106, v76, v116
	v_mul_f32_e32 v51, v137, v116
	;; [unrolled: 1-line block ×3, first 2 shown]
	v_fmac_f32_e32 v56, v80, v107
	v_fmac_f32_e32 v54, v81, v111
	v_fma_f32 v57, v137, v115, -v106
	v_fmac_f32_e32 v48, v78, v113
	v_fmac_f32_e32 v51, v76, v115
	s_waitcnt vmcnt(3) lgkmcnt(3)
	v_mul_f32_e32 v31, v139, v122
	s_waitcnt lgkmcnt(2)
	v_mul_f32_e32 v33, v141, v124
	v_mul_f32_e32 v32, v72, v122
	;; [unrolled: 1-line block ×3, first 2 shown]
	v_fmac_f32_e32 v49, v79, v117
	v_fmac_f32_e32 v31, v72, v121
	s_waitcnt vmcnt(2)
	v_mul_f32_e32 v83, v140, v126
	v_mul_f32_e32 v34, v73, v126
	v_fmac_f32_e32 v33, v70, v123
	v_mul_f32_e32 v35, v71, v128
	v_fma_f32 v32, v139, v121, -v32
	v_fmac_f32_e32 v83, v73, v125
	v_fma_f32 v73, v140, v125, -v34
	s_waitcnt vmcnt(1)
	v_mul_f32_e32 v34, v66, v130
	s_waitcnt lgkmcnt(0)
	v_mul_f32_e32 v69, v27, v132
	v_fma_f32 v30, v141, v123, -v30
	v_mul_f32_e32 v88, v142, v128
	v_mul_f32_e32 v64, v143, v130
	v_fma_f32 v89, v142, v127, -v35
	v_mul_f32_e32 v35, v15, v132
	s_waitcnt vmcnt(0)
	v_mul_f32_e32 v50, v144, v134
	v_fma_f32 v70, v143, v129, -v34
	v_fmac_f32_e32 v69, v15, v131
	v_mul_f32_e32 v15, v67, v134
	v_mov_b32_e32 v34, 36
	v_mul_f32_e32 v105, v28, v136
	v_add_f32_e32 v37, v31, v33
	v_fmac_f32_e32 v88, v71, v127
	v_fmac_f32_e32 v64, v66, v129
	v_fma_f32 v66, v27, v131, -v35
	v_fmac_f32_e32 v50, v67, v133
	v_fma_f32 v67, v144, v133, -v15
	v_mul_f32_e32 v15, v16, v136
	v_mul_u32_u24_sdwa v27, v145, v34 dst_sel:DWORD dst_unused:UNUSED_PAD src0_sel:WORD_0 src1_sel:DWORD
	v_lshlrev_b32_sdwa v35, v42, v147 dst_sel:DWORD dst_unused:UNUSED_PAD src0_sel:DWORD src1_sel:BYTE_0
	v_add_f32_e32 v36, v13, v31
	v_fmac_f32_e32 v105, v16, v135
	v_fma_f32 v13, -0.5, v37, v13
	v_sub_f32_e32 v16, v32, v30
	v_fma_f32 v106, v28, v135, -v15
	v_add3_u32 v107, 0, v27, v35
	v_add_f32_e32 v15, v36, v33
	v_add_f32_e32 v36, v83, v88
	v_fmamk_f32 v35, v16, 0xbf5db3d7, v13
	v_mul_u32_u24_sdwa v34, v146, v34 dst_sel:DWORD dst_unused:UNUSED_PAD src0_sel:WORD_0 src1_sel:DWORD
	v_lshlrev_b32_sdwa v37, v42, v149 dst_sel:DWORD dst_unused:UNUSED_PAD src0_sel:DWORD src1_sel:BYTE_0
	v_fmac_f32_e32 v13, 0x3f5db3d7, v16
	v_fmac_f32_e32 v52, v77, v119
	ds_read2_b32 v[71:72], v0 offset1:108
	ds_read2_b32 v[76:77], v93 offset0:88 offset1:196
	ds_read2_b32 v[78:79], v96 offset0:48 offset1:156
	ds_read2_b32 v[80:81], v97 offset0:136 offset1:244
	ds_read2_b32 v[27:28], v102 offset0:96 offset1:204
	s_waitcnt lgkmcnt(0)
	s_barrier
	buffer_gl0_inv
	v_add_f32_e32 v16, v14, v83
	v_fmac_f32_e32 v14, -0.5, v36
	v_sub_f32_e32 v36, v73, v89
	ds_write2_b32 v107, v15, v35 offset1:3
	ds_write_b32 v107, v13 offset:24
	v_add3_u32 v13, 0, v34, v37
	v_add_f32_e32 v34, v63, v68
	v_add_f32_e32 v15, v16, v88
	v_fmamk_f32 v16, v36, 0xbf5db3d7, v14
	v_lshlrev_b32_sdwa v19, v42, v19 dst_sel:DWORD dst_unused:UNUSED_PAD src0_sel:DWORD src1_sel:WORD_0
	v_add_f32_e32 v35, v11, v63
	v_fma_f32 v11, -0.5, v34, v11
	v_sub_f32_e32 v34, v86, v84
	v_fmac_f32_e32 v14, 0x3f5db3d7, v36
	ds_write2_b32 v13, v15, v16 offset1:3
	ds_write_b32 v13, v14 offset:24
	v_add3_u32 v14, 0, v18, v19
	v_add_f32_e32 v15, v35, v68
	v_fmamk_f32 v16, v34, 0xbf5db3d7, v11
	v_add_f32_e32 v18, v58, v61
	v_fmac_f32_e32 v11, 0x3f5db3d7, v34
	v_add_f32_e32 v19, v12, v58
	v_lshlrev_b32_sdwa v20, v42, v20 dst_sel:DWORD dst_unused:UNUSED_PAD src0_sel:DWORD src1_sel:WORD_0
	ds_write2_b32 v14, v15, v16 offset1:3
	ds_write_b32 v14, v11 offset:24
	v_fmac_f32_e32 v12, -0.5, v18
	v_sub_f32_e32 v18, v87, v85
	v_add_f32_e32 v16, v55, v56
	v_add3_u32 v108, 0, v17, v20
	v_add_f32_e32 v11, v19, v61
	v_mul_u32_u24_e32 v17, 36, v21
	v_fmamk_f32 v15, v18, 0xbf5db3d7, v12
	v_fmac_f32_e32 v12, 0x3f5db3d7, v18
	v_lshlrev_b32_sdwa v18, v42, v29 dst_sel:DWORD dst_unused:UNUSED_PAD src0_sel:DWORD src1_sel:WORD_0
	v_add_f32_e32 v19, v9, v55
	v_fma_f32 v9, -0.5, v16, v9
	v_sub_f32_e32 v16, v82, v75
	ds_write2_b32 v108, v11, v15 offset1:3
	ds_write_b32 v108, v12 offset:24
	v_add3_u32 v109, 0, v17, v18
	v_add_f32_e32 v11, v19, v56
	v_add_f32_e32 v15, v53, v54
	v_fmamk_f32 v12, v16, 0xbf5db3d7, v9
	v_fmac_f32_e32 v9, 0x3f5db3d7, v16
	v_mul_u32_u24_e32 v16, 36, v23
	v_lshlrev_b32_sdwa v17, v42, v25 dst_sel:DWORD dst_unused:UNUSED_PAD src0_sel:DWORD src1_sel:WORD_0
	v_add_f32_e32 v18, v10, v53
	ds_write2_b32 v109, v11, v12 offset1:3
	v_fmac_f32_e32 v10, -0.5, v15
	v_mul_u32_u24_e32 v12, 36, v24
	v_lshlrev_b32_sdwa v15, v42, v40 dst_sel:DWORD dst_unused:UNUSED_PAD src0_sel:DWORD src1_sel:WORD_0
	v_add3_u32 v110, 0, v16, v17
	v_add_f32_e32 v17, v48, v51
	v_sub_f32_e32 v11, v74, v65
	v_add_f32_e32 v16, v7, v48
	v_add3_u32 v111, 0, v12, v15
	v_add_f32_e32 v12, v49, v52
	v_fma_f32 v7, -0.5, v17, v7
	v_sub_f32_e32 v15, v62, v57
	ds_write_b32 v109, v9 offset:24
	v_add_f32_e32 v9, v18, v54
	v_fmamk_f32 v18, v11, 0xbf5db3d7, v10
	v_fmac_f32_e32 v10, 0x3f5db3d7, v11
	v_add_f32_e32 v11, v16, v51
	v_add_f32_e32 v16, v8, v49
	v_mul_u32_u24_e32 v17, 36, v22
	v_lshlrev_b32_sdwa v19, v42, v26 dst_sel:DWORD dst_unused:UNUSED_PAD src0_sel:DWORD src1_sel:WORD_0
	v_fmac_f32_e32 v8, -0.5, v12
	v_sub_f32_e32 v12, v59, v60
	v_fmamk_f32 v20, v15, 0xbf5db3d7, v7
	v_fmac_f32_e32 v7, 0x3f5db3d7, v15
	v_add3_u32 v112, 0, v17, v19
	v_add_f32_e32 v15, v16, v52
	v_fmamk_f32 v16, v12, 0xbf5db3d7, v8
	ds_write2_b32 v110, v9, v18 offset1:3
	ds_write_b32 v110, v10 offset:24
	ds_write2_b32 v111, v11, v20 offset1:3
	ds_write_b32 v111, v7 offset:24
	ds_write2_b32 v112, v15, v16 offset1:3
	v_add_f32_e32 v7, v64, v69
	v_mul_u32_u24_e32 v9, 36, v148
	v_lshlrev_b32_sdwa v10, v42, v151 dst_sel:DWORD dst_unused:UNUSED_PAD src0_sel:DWORD src1_sel:WORD_0
	v_add_f32_e32 v11, v5, v64
	v_fmac_f32_e32 v8, 0x3f5db3d7, v12
	v_fma_f32 v5, -0.5, v7, v5
	v_sub_f32_e32 v7, v70, v66
	v_add3_u32 v113, 0, v9, v10
	v_add_f32_e32 v9, v50, v105
	ds_write_b32 v112, v8 offset:24
	v_add_f32_e32 v8, v11, v69
	v_fmamk_f32 v10, v7, 0xbf5db3d7, v5
	v_fmac_f32_e32 v5, 0x3f5db3d7, v7
	v_add_f32_e32 v11, v6, v50
	v_mul_u32_u24_e32 v12, 36, v150
	v_lshlrev_b32_sdwa v15, v42, v152 dst_sel:DWORD dst_unused:UNUSED_PAD src0_sel:DWORD src1_sel:WORD_0
	v_fmac_f32_e32 v6, -0.5, v9
	v_sub_f32_e32 v9, v67, v106
	ds_write_b32 v113, v5 offset:24
	v_add_f32_e32 v5, v32, v30
	ds_write2_b32 v113, v8, v10 offset1:3
	v_add3_u32 v114, 0, v12, v15
	v_add_f32_e32 v7, v11, v105
	v_fmamk_f32 v8, v9, 0xbf5db3d7, v6
	v_fmac_f32_e32 v6, 0x3f5db3d7, v9
	v_add_f32_e32 v9, v71, v32
	v_sub_f32_e32 v115, v31, v33
	v_fma_f32 v5, -0.5, v5, v71
	v_add_f32_e32 v71, v73, v89
	ds_write2_b32 v114, v7, v8 offset1:3
	ds_write_b32 v114, v6 offset:24
	v_add_f32_e32 v6, v9, v30
	v_add_f32_e32 v73, v72, v73
	v_fmamk_f32 v116, v115, 0x3f5db3d7, v5
	v_fmac_f32_e32 v72, -0.5, v71
	v_sub_f32_e32 v71, v83, v88
	v_fmac_f32_e32 v5, 0xbf5db3d7, v115
	s_waitcnt lgkmcnt(0)
	s_barrier
	buffer_gl0_inv
	ds_read2_b32 v[7:8], v0 offset1:108
	ds_read2_b32 v[9:10], v93 offset0:88 offset1:196
	ds_read2_b32 v[37:38], v97 offset0:136 offset1:244
	;; [unrolled: 1-line block ×14, first 2 shown]
	s_waitcnt lgkmcnt(0)
	s_barrier
	buffer_gl0_inv
	ds_write2_b32 v107, v6, v116 offset1:3
	ds_write_b32 v107, v5 offset:24
	v_add_f32_e32 v5, v73, v89
	v_add_f32_e32 v6, v86, v84
	v_fmamk_f32 v73, v71, 0x3f5db3d7, v72
	v_fmac_f32_e32 v72, 0xbf5db3d7, v71
	v_add_f32_e32 v71, v76, v86
	v_sub_f32_e32 v63, v63, v68
	v_fma_f32 v6, -0.5, v6, v76
	ds_write2_b32 v13, v5, v73 offset1:3
	v_add_f32_e32 v5, v87, v85
	ds_write_b32 v13, v72 offset:24
	v_add_f32_e32 v13, v71, v84
	v_fmamk_f32 v68, v63, 0x3f5db3d7, v6
	v_add_f32_e32 v71, v77, v87
	v_fmac_f32_e32 v77, -0.5, v5
	v_sub_f32_e32 v5, v58, v61
	v_fmac_f32_e32 v6, 0xbf5db3d7, v63
	v_add_f32_e32 v58, v82, v75
	ds_write2_b32 v14, v13, v68 offset1:3
	v_add_f32_e32 v13, v71, v85
	v_fmamk_f32 v61, v5, 0x3f5db3d7, v77
	ds_write_b32 v14, v6 offset:24
	v_sub_f32_e32 v14, v55, v56
	v_fma_f32 v55, -0.5, v58, v78
	v_fmac_f32_e32 v77, 0xbf5db3d7, v5
	v_add_f32_e32 v5, v74, v65
	v_add_f32_e32 v6, v78, v82
	ds_write2_b32 v108, v13, v61 offset1:3
	v_fmamk_f32 v13, v14, 0x3f5db3d7, v55
	v_fmac_f32_e32 v55, 0xbf5db3d7, v14
	v_add_f32_e32 v14, v79, v74
	v_fmac_f32_e32 v79, -0.5, v5
	v_sub_f32_e32 v5, v53, v54
	v_add_f32_e32 v6, v6, v75
	ds_write_b32 v108, v77 offset:24
	ds_write2_b32 v109, v6, v13 offset1:3
	ds_write_b32 v109, v55 offset:24
	v_fmamk_f32 v13, v5, 0x3f5db3d7, v79
	v_add_f32_e32 v53, v80, v62
	v_fmac_f32_e32 v79, 0xbf5db3d7, v5
	v_add_f32_e32 v5, v59, v60
	v_sub_f32_e32 v48, v48, v51
	v_add_f32_e32 v6, v14, v65
	v_add_f32_e32 v51, v53, v57
	;; [unrolled: 1-line block ×3, first 2 shown]
	v_fmac_f32_e32 v81, -0.5, v5
	v_sub_f32_e32 v5, v49, v52
	v_add_f32_e32 v14, v62, v57
	v_add_f32_e32 v56, v28, v67
	;; [unrolled: 1-line block ×3, first 2 shown]
	v_lshrrev_b16 v74, 9, v47
	v_fmamk_f32 v53, v5, 0x3f5db3d7, v81
	v_fmac_f32_e32 v81, 0xbf5db3d7, v5
	v_add_f32_e32 v5, v67, v106
	v_fma_f32 v14, -0.5, v14, v80
	ds_write2_b32 v110, v6, v13 offset1:3
	v_mul_lo_u16 v13, v74, 9
	ds_write_b32 v110, v79 offset:24
	v_fmac_f32_e32 v28, -0.5, v5
	v_sub_f32_e32 v5, v50, v105
	v_mul_lo_u16 v50, v46, 57
	v_fmamk_f32 v49, v48, 0x3f5db3d7, v14
	v_fmac_f32_e32 v14, 0xbf5db3d7, v48
	v_add_f32_e32 v48, v70, v66
	v_fmamk_f32 v6, v5, 0x3f5db3d7, v28
	v_fmac_f32_e32 v28, 0xbf5db3d7, v5
	v_mov_b32_e32 v5, 0xe38f
	v_sub_nc_u16 v79, v90, v13
	v_lshrrev_b16 v73, 9, v50
	v_mov_b32_e32 v13, 9
	v_add_f32_e32 v54, v27, v70
	v_mul_u32_u24_sdwa v5, v43, v5 dst_sel:DWORD dst_unused:UNUSED_PAD src0_sel:WORD_0 src1_sel:DWORD
	v_sub_f32_e32 v55, v64, v69
	v_fma_f32 v27, -0.5, v48, v27
	ds_write2_b32 v111, v51, v49 offset1:3
	ds_write_b32 v111, v14 offset:24
	v_mul_u32_u24_sdwa v14, v79, v13 dst_sel:DWORD dst_unused:UNUSED_PAD src0_sel:BYTE_0 src1_sel:DWORD
	v_lshrrev_b32_e32 v59, 19, v5
	v_mul_lo_u16 v5, v73, 9
	v_add_f32_e32 v48, v54, v66
	v_fmamk_f32 v54, v55, 0x3f5db3d7, v27
	v_fmac_f32_e32 v27, 0xbf5db3d7, v55
	v_add_f32_e32 v47, v56, v106
	v_sub_nc_u16 v77, v45, v5
	v_lshlrev_b32_e32 v5, 3, v14
	ds_write2_b32 v112, v52, v53 offset1:3
	ds_write_b32 v112, v81 offset:24
	ds_write_b32 v113, v27 offset:24
	v_mul_lo_u16 v27, v59, 9
	ds_write2_b32 v113, v48, v54 offset1:3
	ds_write2_b32 v114, v47, v6 offset1:3
	ds_write_b32 v114, v28 offset:24
	s_waitcnt lgkmcnt(0)
	s_barrier
	buffer_gl0_inv
	global_load_dwordx4 v[50:53], v5, s[12:13] offset:48
	v_sub_nc_u16 v61, v43, v27
	v_mul_u32_u24_sdwa v6, v77, v13 dst_sel:DWORD dst_unused:UNUSED_PAD src0_sel:BYTE_0 src1_sel:DWORD
	v_lshlrev_b32_sdwa v79, v42, v79 dst_sel:DWORD dst_unused:UNUSED_PAD src0_sel:DWORD src1_sel:BYTE_0
	v_mul_lo_u16 v46, 0xb7, v46
	v_mul_u32_u24_sdwa v13, v61, v13 dst_sel:DWORD dst_unused:UNUSED_PAD src0_sel:WORD_0 src1_sel:DWORD
	v_lshlrev_b32_e32 v6, 3, v6
	v_lshrrev_b16 v46, 14, v46
	v_lshlrev_b32_e32 v27, 3, v13
	s_clause 0xd
	global_load_dwordx4 v[62:65], v6, s[12:13] offset:48
	global_load_dwordx4 v[68:71], v27, s[12:13] offset:48
	;; [unrolled: 1-line block ×11, first 2 shown]
	global_load_dwordx2 v[133:134], v5, s[12:13] offset:112
	global_load_dwordx2 v[13:14], v6, s[12:13] offset:112
	;; [unrolled: 1-line block ×3, first 2 shown]
	ds_read2_b32 v[5:6], v93 offset0:88 offset1:196
	ds_read2_b32 v[55:56], v97 offset0:136 offset1:244
	ds_read2_b32 v[135:136], v96 offset0:48 offset1:156
	ds_read2_b32 v[137:138], v102 offset0:96 offset1:204
	ds_read2_b32 v[139:140], v94 offset0:16 offset1:124
	ds_read2_b32 v[141:142], v91 offset0:56 offset1:164
	ds_read2_b32 v[143:144], v100 offset0:104 offset1:212
	s_waitcnt vmcnt(14) lgkmcnt(5)
	v_mul_f32_e32 v72, v55, v53
	v_mul_f32_e32 v53, v37, v53
	;; [unrolled: 1-line block ×4, first 2 shown]
	s_waitcnt vmcnt(13)
	v_mul_f32_e32 v54, v56, v65
	v_mul_f32_e32 v57, v38, v65
	s_waitcnt lgkmcnt(4)
	v_mul_f32_e32 v51, v135, v63
	v_mul_f32_e32 v60, v39, v63
	s_waitcnt vmcnt(12)
	v_mul_f32_e32 v47, v136, v69
	v_mul_f32_e32 v63, v40, v69
	;; [unrolled: 1-line block ×3, first 2 shown]
	s_waitcnt vmcnt(11) lgkmcnt(3)
	v_mul_f32_e32 v80, v138, v82
	v_mul_f32_e32 v67, v36, v82
	v_fmac_f32_e32 v72, v37, v52
	v_fma_f32 v69, v55, v52, -v53
	ds_read2_b32 v[52:53], v103 offset0:24 offset1:132
	s_waitcnt lgkmcnt(3)
	v_mul_f32_e32 v76, v139, v84
	v_fmac_f32_e32 v54, v38, v64
	v_fma_f32 v55, v56, v64, -v57
	v_fmac_f32_e32 v51, v39, v62
	v_fma_f32 v39, v137, v70, -v65
	;; [unrolled: 2-line block ×3, first 2 shown]
	ds_read2_b32 v[64:65], v98 offset0:64 offset1:172
	ds_read2_b32 v[81:82], v92 offset0:112 offset1:220
	v_mul_f32_e32 v48, v137, v71
	v_mul_f32_e32 v71, v33, v84
	v_fmac_f32_e32 v58, v10, v50
	v_fma_f32 v66, v6, v50, -v49
	v_fma_f32 v6, v136, v68, -v63
	v_fmac_f32_e32 v76, v33, v83
	s_waitcnt vmcnt(10)
	v_mul_f32_e32 v63, v140, v88
	v_mul_f32_e32 v10, v34, v88
	;; [unrolled: 1-line block ×3, first 2 shown]
	s_waitcnt vmcnt(9) lgkmcnt(4)
	v_mul_f32_e32 v33, v142, v106
	v_fmac_f32_e32 v48, v35, v70
	v_mul_f32_e32 v35, v141, v86
	v_fmac_f32_e32 v63, v34, v87
	v_fma_f32 v57, v140, v87, -v10
	v_fma_f32 v34, v141, v85, -v37
	v_mul_f32_e32 v10, v32, v106
	v_fmac_f32_e32 v33, v32, v105
	v_mul_f32_e32 v32, v29, v108
	s_waitcnt vmcnt(8) lgkmcnt(3)
	v_mul_f32_e32 v37, v144, v110
	v_fmac_f32_e32 v47, v40, v68
	v_fma_f32 v70, v139, v83, -v71
	v_fmac_f32_e32 v35, v31, v85
	v_fma_f32 v31, v142, v105, -v10
	v_mul_f32_e32 v10, v30, v110
	v_fma_f32 v49, v143, v107, -v32
	v_fmac_f32_e32 v37, v30, v109
	v_mul_f32_e32 v30, v25, v112
	s_waitcnt vmcnt(7) lgkmcnt(2)
	v_mul_f32_e32 v68, v53, v116
	v_mul_f32_e32 v32, v26, v116
	ds_read2_b32 v[83:84], v101 offset0:32 offset1:140
	ds_read2_b32 v[85:86], v95 offset0:72 offset1:180
	v_fma_f32 v56, v135, v62, -v60
	v_mul_f32_e32 v40, v143, v108
	v_fma_f32 v75, v52, v111, -v30
	v_fmac_f32_e32 v68, v26, v115
	s_waitcnt lgkmcnt(3)
	v_mul_f32_e32 v30, v64, v114
	v_fma_f32 v62, v53, v115, -v32
	v_mul_f32_e32 v26, v23, v114
	s_waitcnt vmcnt(6) lgkmcnt(2)
	v_mul_f32_e32 v53, v81, v120
	s_waitcnt vmcnt(5)
	v_mul_f32_e32 v38, v82, v122
	ds_read2_b32 v[87:88], v99 offset0:120 offset1:228
	v_fmac_f32_e32 v40, v29, v107
	v_fma_f32 v29, v144, v109, -v10
	v_mul_f32_e32 v10, v52, v112
	v_fmac_f32_e32 v30, v23, v113
	v_fma_f32 v64, v64, v113, -v26
	v_mul_f32_e32 v23, v15, v120
	v_mul_f32_e32 v26, v16, v122
	v_fmac_f32_e32 v53, v15, v119
	v_fmac_f32_e32 v38, v16, v121
	ds_read2_b32 v[15:16], v104 offset0:80 offset1:188
	v_fmac_f32_e32 v10, v25, v111
	v_mul_f32_e32 v25, v65, v118
	v_mul_f32_e32 v32, v24, v118
	v_fma_f32 v52, v81, v119, -v23
	v_fma_f32 v23, v82, v121, -v26
	v_mul_f32_e32 v26, v21, v124
	v_fmac_f32_e32 v25, v24, v117
	v_fma_f32 v50, v65, v117, -v32
	s_waitcnt lgkmcnt(3)
	v_mul_f32_e32 v24, v83, v124
	s_waitcnt vmcnt(4) lgkmcnt(2)
	v_mul_f32_e32 v32, v85, v126
	v_fma_f32 v78, v83, v123, -v26
	v_mul_f32_e32 v60, v19, v126
	s_waitcnt vmcnt(3)
	v_mul_f32_e32 v26, v86, v130
	v_fmac_f32_e32 v24, v21, v123
	v_mul_f32_e32 v71, v84, v128
	v_mul_f32_e32 v21, v22, v128
	v_fmac_f32_e32 v32, v19, v125
	v_fma_f32 v67, v85, v125, -v60
	v_mul_f32_e32 v19, v20, v130
	s_waitcnt lgkmcnt(1)
	v_mul_f32_e32 v60, v87, v132
	v_fmac_f32_e32 v26, v20, v129
	s_waitcnt vmcnt(2)
	v_mul_f32_e32 v20, v88, v134
	v_fmac_f32_e32 v71, v22, v127
	v_fma_f32 v65, v84, v127, -v21
	v_mul_f32_e32 v22, v17, v132
	v_fma_f32 v21, v86, v129, -v19
	v_fmac_f32_e32 v60, v17, v131
	v_mul_f32_e32 v17, v18, v134
	v_fmac_f32_e32 v20, v18, v133
	s_waitcnt vmcnt(1) lgkmcnt(0)
	v_mul_f32_e32 v19, v15, v14
	s_waitcnt vmcnt(0)
	v_mul_f32_e32 v18, v16, v28
	v_mul_f32_e32 v28, v12, v28
	v_fma_f32 v22, v87, v131, -v22
	v_add_f32_e32 v82, v40, v53
	v_fmac_f32_e32 v19, v11, v13
	v_add_f32_e32 v83, v48, v60
	v_fma_f32 v81, v16, v27, -v28
	v_sub_f32_e32 v28, v40, v48
	v_sub_f32_e32 v87, v53, v60
	v_mul_f32_e32 v11, v11, v14
	v_fma_f32 v17, v88, v133, -v17
	v_fmac_f32_e32 v18, v12, v27
	v_fma_f32 v12, -0.5, v82, v9
	v_add_f32_e32 v16, v9, v48
	v_fmac_f32_e32 v9, -0.5, v83
	v_add_f32_e32 v83, v50, v21
	v_add_f32_e32 v88, v31, v81
	v_sub_f32_e32 v89, v50, v31
	v_sub_f32_e32 v105, v21, v81
	v_add_f32_e32 v14, v28, v87
	v_fma_f32 v87, v15, v13, -v11
	v_fma_f32 v83, -0.5, v83, v6
	v_add_f32_e32 v84, v6, v31
	v_fmac_f32_e32 v6, -0.5, v88
	v_add_f32_e32 v112, v89, v105
	v_add_f32_e32 v88, v63, v68
	;; [unrolled: 1-line block ×5, first 2 shown]
	v_sub_f32_e32 v106, v30, v35
	v_fma_f32 v13, -0.5, v88, v8
	v_fma_f32 v88, -0.5, v15, v51
	v_add_f32_e32 v15, v35, v19
	v_sub_f32_e32 v107, v32, v19
	v_fma_f32 v89, -0.5, v89, v56
	v_add_f32_e32 v105, v56, v34
	v_sub_f32_e32 v121, v64, v34
	v_sub_f32_e32 v122, v67, v87
	v_fmac_f32_e32 v56, -0.5, v109
	v_sub_f32_e32 v123, v30, v32
	v_add_f32_e32 v11, v54, v71
	v_add_f32_e32 v120, v51, v35
	v_fmac_f32_e32 v51, -0.5, v15
	v_add_f32_e32 v15, v106, v107
	v_add_f32_e32 v121, v121, v122
	v_sub_f32_e32 v122, v64, v67
	v_fmamk_f32 v107, v123, 0xbf737871, v56
	v_fmac_f32_e32 v56, 0x3f737871, v123
	v_sub_f32_e32 v124, v35, v19
	v_add_f32_e32 v119, v8, v54
	v_fmac_f32_e32 v8, -0.5, v11
	v_sub_f32_e32 v125, v57, v62
	v_fmamk_f32 v106, v122, 0x3f737871, v51
	v_fmac_f32_e32 v51, 0xbf737871, v122
	v_sub_f32_e32 v126, v34, v87
	v_fmac_f32_e32 v56, 0xbf167918, v124
	v_sub_f32_e32 v11, v63, v54
	v_sub_f32_e32 v108, v68, v71
	v_fmamk_f32 v127, v125, 0x3f737871, v8
	v_fmac_f32_e32 v8, 0xbf737871, v125
	v_sub_f32_e32 v128, v55, v65
	v_fmac_f32_e32 v51, 0x3f167918, v126
	v_fmac_f32_e32 v56, 0x3e9e377a, v121
	v_add_f32_e32 v11, v11, v108
	v_add_f32_e32 v27, v25, v26
	v_fmac_f32_e32 v8, 0x3f167918, v128
	v_fmac_f32_e32 v51, 0x3e9e377a, v15
	v_mul_f32_e32 v108, 0xbf737871, v56
	v_sub_f32_e32 v133, v20, v38
	v_fma_f32 v82, -0.5, v27, v47
	v_fmac_f32_e32 v8, 0x3e9e377a, v11
	v_add_f32_e32 v27, v33, v18
	v_fmac_f32_e32 v108, 0xbe9e377a, v51
	v_sub_f32_e32 v85, v25, v33
	v_sub_f32_e32 v86, v26, v18
	;; [unrolled: 1-line block ×3, first 2 shown]
	v_add_f32_e32 v110, v47, v33
	v_add_f32_e32 v132, v8, v108
	v_sub_f32_e32 v8, v8, v108
	v_sub_f32_e32 v108, v80, v37
	v_fmac_f32_e32 v47, -0.5, v27
	v_add_f32_e32 v27, v85, v86
	v_sub_f32_e32 v113, v50, v21
	v_fmamk_f32 v86, v111, 0xbf737871, v6
	v_add_f32_e32 v133, v108, v133
	v_add_f32_e32 v108, v37, v38
	v_fmac_f32_e32 v6, 0x3f737871, v111
	v_sub_f32_e32 v114, v33, v18
	v_sub_f32_e32 v115, v49, v52
	v_fmamk_f32 v85, v113, 0x3f737871, v47
	v_fma_f32 v138, -0.5, v108, v58
	v_add_f32_e32 v108, v58, v80
	v_fmac_f32_e32 v47, 0xbf737871, v113
	v_sub_f32_e32 v116, v31, v81
	v_fmac_f32_e32 v6, 0xbf167918, v114
	v_add_f32_e32 v109, v76, v10
	v_mov_b32_e32 v136, 0x168
	v_add_f32_e32 v108, v108, v37
	v_fmamk_f32 v117, v115, 0x3f737871, v9
	v_fmac_f32_e32 v9, 0xbf737871, v115
	v_sub_f32_e32 v118, v39, v22
	v_fmac_f32_e32 v47, 0x3f167918, v116
	v_fmac_f32_e32 v6, 0x3e9e377a, v112
	v_fma_f32 v130, -0.5, v109, v7
	v_sub_f32_e32 v109, v72, v76
	v_sub_f32_e32 v131, v24, v10
	v_mul_u32_u24_sdwa v74, v74, v136 dst_sel:DWORD dst_unused:UNUSED_PAD src0_sel:WORD_0 src1_sel:DWORD
	v_add_f32_e32 v108, v108, v38
	v_fmac_f32_e32 v9, 0x3f167918, v118
	v_fmac_f32_e32 v47, 0x3e9e377a, v27
	v_mul_f32_e32 v28, 0xbf737871, v6
	v_sub_f32_e32 v134, v36, v29
	v_sub_f32_e32 v135, v17, v23
	v_add_f32_e32 v131, v109, v131
	v_add_f32_e32 v109, v29, v23
	v_sub_f32_e32 v137, v80, v20
	v_sub_f32_e32 v141, v37, v38
	v_add3_u32 v74, 0, v74, v79
	v_add_f32_e32 v79, v108, v20
	v_add_f32_e32 v151, v80, v20
	v_sub_f32_e32 v37, v37, v80
	v_sub_f32_e32 v20, v38, v20
	v_add_f32_e32 v38, v36, v17
	v_fmac_f32_e32 v9, 0x3e9e377a, v14
	v_fmac_f32_e32 v28, 0xbe9e377a, v47
	v_add_f32_e32 v134, v134, v135
	v_fma_f32 v135, -0.5, v109, v66
	v_sub_f32_e32 v148, v76, v72
	v_sub_f32_e32 v149, v10, v24
	v_add_f32_e32 v20, v37, v20
	v_add_f32_e32 v37, v66, v36
	v_fmac_f32_e32 v66, -0.5, v38
	v_add_f32_e32 v129, v9, v28
	v_sub_f32_e32 v9, v9, v28
	v_add_f32_e32 v28, v72, v24
	v_sub_f32_e32 v139, v36, v17
	v_fmamk_f32 v140, v137, 0x3f737871, v135
	v_sub_f32_e32 v144, v29, v23
	v_add_f32_e32 v148, v148, v149
	v_fmac_f32_e32 v58, -0.5, v151
	v_sub_f32_e32 v36, v29, v36
	v_sub_f32_e32 v38, v23, v17
	v_fmamk_f32 v149, v141, 0xbf737871, v66
	v_fmac_f32_e32 v66, 0x3f737871, v141
	v_fmac_f32_e32 v135, 0xbf737871, v137
	v_fma_f32 v28, -0.5, v28, v7
	v_add_f32_e32 v7, v7, v72
	v_sub_f32_e32 v142, v69, v78
	v_fmamk_f32 v143, v139, 0xbf737871, v138
	v_fmac_f32_e32 v140, 0x3f167918, v141
	v_sub_f32_e32 v146, v70, v75
	v_fmamk_f32 v80, v144, 0x3f737871, v58
	v_fmac_f32_e32 v58, 0xbf737871, v144
	v_add_f32_e32 v36, v36, v38
	v_fmac_f32_e32 v149, 0x3f167918, v137
	v_fmac_f32_e32 v66, 0xbf167918, v137
	;; [unrolled: 1-line block ×4, first 2 shown]
	v_add_f32_e32 v7, v7, v76
	v_fmamk_f32 v145, v142, 0xbf737871, v130
	v_fmac_f32_e32 v143, 0xbf167918, v144
	v_fmac_f32_e32 v140, 0x3e9e377a, v134
	v_fmamk_f32 v150, v146, 0x3f737871, v28
	v_fmac_f32_e32 v28, 0xbf737871, v146
	v_fmac_f32_e32 v80, 0xbf167918, v139
	;; [unrolled: 1-line block ×8, first 2 shown]
	v_add_f32_e32 v7, v7, v10
	v_fmac_f32_e32 v145, 0xbf167918, v146
	v_fmac_f32_e32 v143, 0x3e9e377a, v133
	v_mul_f32_e32 v147, 0xbf167918, v140
	v_fmac_f32_e32 v150, 0xbf167918, v142
	v_fmac_f32_e32 v28, 0x3f167918, v142
	;; [unrolled: 1-line block ×4, first 2 shown]
	v_mul_f32_e32 v20, 0xbf737871, v149
	v_mul_f32_e32 v36, 0xbf737871, v66
	v_fmac_f32_e32 v130, 0x3f167918, v146
	v_fmac_f32_e32 v138, 0x3e9e377a, v133
	v_mul_f32_e32 v38, 0xbf167918, v135
	v_add_f32_e32 v7, v7, v24
	v_fmac_f32_e32 v145, 0x3e9e377a, v131
	v_fmac_f32_e32 v147, 0x3f4f1bbd, v143
	;; [unrolled: 1-line block ×8, first 2 shown]
	v_add_f32_e32 v152, v7, v79
	v_add_f32_e32 v131, v145, v147
	;; [unrolled: 1-line block ×4, first 2 shown]
	v_sub_f32_e32 v7, v7, v79
	v_add_f32_e32 v79, v130, v38
	v_sub_f32_e32 v137, v145, v147
	v_sub_f32_e32 v20, v150, v20
	ds_read2_b32 v[108:109], v0 offset1:108
	s_waitcnt lgkmcnt(0)
	s_barrier
	buffer_gl0_inv
	ds_write2_b32 v74, v152, v131 offset1:9
	ds_write2_b32 v74, v133, v134 offset0:18 offset1:27
	ds_write2_b32 v74, v79, v7 offset0:36 offset1:45
	ds_write2_b32 v74, v137, v20 offset0:54 offset1:63
	v_add_f32_e32 v20, v120, v30
	v_sub_f32_e32 v30, v35, v30
	v_sub_f32_e32 v7, v28, v36
	;; [unrolled: 1-line block ×4, first 2 shown]
	v_add_f32_e32 v20, v20, v32
	v_sub_f32_e32 v32, v19, v32
	v_sub_f32_e32 v35, v87, v67
	ds_write2_b32 v74, v7, v28 offset0:72 offset1:81
	v_fmamk_f32 v79, v126, 0xbf737871, v88
	v_add_f32_e32 v19, v20, v19
	v_add_f32_e32 v20, v30, v32
	v_mul_u32_u24_sdwa v30, v73, v136 dst_sel:DWORD dst_unused:UNUSED_PAD src0_sel:WORD_0 src1_sel:DWORD
	v_fmamk_f32 v73, v124, 0x3f737871, v89
	v_fmac_f32_e32 v89, 0xbf737871, v124
	v_add_f32_e32 v28, v34, v35
	v_add_f32_e32 v32, v119, v63
	v_fmac_f32_e32 v107, 0x3f167918, v124
	v_fmac_f32_e32 v73, 0x3f167918, v123
	v_fmac_f32_e32 v88, 0x3f737871, v126
	v_fmac_f32_e32 v89, 0xbf167918, v123
	v_sub_f32_e32 v36, v54, v63
	v_sub_f32_e32 v38, v71, v68
	v_fmamk_f32 v34, v128, 0xbf737871, v13
	v_lshlrev_b32_sdwa v35, v42, v77 dst_sel:DWORD dst_unused:UNUSED_PAD src0_sel:DWORD src1_sel:BYTE_0
	v_add_f32_e32 v32, v32, v68
	v_fmac_f32_e32 v79, 0xbf167918, v122
	v_fmac_f32_e32 v73, 0x3e9e377a, v28
	;; [unrolled: 1-line block ×7, first 2 shown]
	v_add_f32_e32 v7, v36, v38
	v_fmac_f32_e32 v34, 0xbf167918, v125
	v_add3_u32 v77, 0, v30, v35
	v_add_f32_e32 v30, v32, v71
	v_fmac_f32_e32 v79, 0x3e9e377a, v20
	v_mul_f32_e32 v32, 0xbf167918, v73
	v_fmac_f32_e32 v127, 0xbf167918, v128
	v_fmac_f32_e32 v106, 0x3e9e377a, v15
	v_mul_f32_e32 v15, 0xbf737871, v107
	v_fmac_f32_e32 v13, 0x3f167918, v125
	;; [unrolled: 3-line block ×3, first 2 shown]
	v_fmac_f32_e32 v32, 0x3f4f1bbd, v79
	v_fmac_f32_e32 v127, 0x3e9e377a, v11
	;; [unrolled: 1-line block ×5, first 2 shown]
	v_add_f32_e32 v7, v30, v19
	v_add_f32_e32 v11, v34, v32
	;; [unrolled: 1-line block ×3, first 2 shown]
	v_sub_f32_e32 v32, v34, v32
	v_sub_f32_e32 v15, v127, v15
	;; [unrolled: 1-line block ×3, first 2 shown]
	v_add_f32_e32 v30, v13, v20
	ds_write2_b32 v77, v7, v11 offset1:9
	ds_write2_b32 v77, v28, v132 offset0:18 offset1:27
	ds_write2_b32 v77, v30, v19 offset0:36 offset1:45
	v_add_f32_e32 v7, v110, v25
	ds_write2_b32 v77, v32, v15 offset0:54 offset1:63
	v_sub_f32_e32 v11, v48, v40
	v_sub_f32_e32 v15, v60, v53
	;; [unrolled: 1-line block ×4, first 2 shown]
	v_add_f32_e32 v7, v7, v26
	v_sub_f32_e32 v26, v31, v50
	v_sub_f32_e32 v28, v81, v21
	v_add_f32_e32 v11, v11, v15
	v_add_f32_e32 v15, v19, v25
	v_mul_u32_u24_e32 v19, 0x168, v59
	v_fmamk_f32 v59, v114, 0x3f737871, v83
	v_fmac_f32_e32 v83, 0xbf737871, v114
	v_add_f32_e32 v7, v7, v18
	v_add_f32_e32 v18, v26, v28
	v_fmamk_f32 v110, v116, 0xbf737871, v82
	v_fmac_f32_e32 v59, 0x3f167918, v111
	v_fmac_f32_e32 v86, 0x3f167918, v114
	;; [unrolled: 1-line block ×4, first 2 shown]
	v_sub_f32_e32 v13, v13, v20
	v_add_f32_e32 v16, v16, v40
	v_fmamk_f32 v20, v118, 0xbf737871, v12
	v_lshlrev_b32_sdwa v25, v42, v61 dst_sel:DWORD dst_unused:UNUSED_PAD src0_sel:DWORD src1_sel:WORD_0
	v_fmac_f32_e32 v110, 0xbf167918, v113
	v_fmac_f32_e32 v59, 0x3e9e377a, v18
	;; [unrolled: 1-line block ×7, first 2 shown]
	v_add_f32_e32 v16, v16, v53
	v_fmac_f32_e32 v20, 0xbf167918, v115
	v_add3_u32 v61, 0, v19, v25
	v_fmac_f32_e32 v110, 0x3e9e377a, v15
	v_mul_f32_e32 v19, 0xbf167918, v59
	v_fmac_f32_e32 v117, 0xbf167918, v118
	v_fmac_f32_e32 v85, 0x3e9e377a, v27
	v_mul_f32_e32 v18, 0xbf737871, v86
	v_fmac_f32_e32 v12, 0x3f167918, v115
	v_fmac_f32_e32 v82, 0x3e9e377a, v15
	v_mul_f32_e32 v15, 0xbf167918, v83
	v_add_f32_e32 v16, v16, v60
	v_fmac_f32_e32 v20, 0x3e9e377a, v11
	v_fmac_f32_e32 v19, 0x3f4f1bbd, v110
	;; [unrolled: 1-line block ×6, first 2 shown]
	v_add_f32_e32 v11, v16, v7
	v_add_f32_e32 v14, v20, v19
	;; [unrolled: 1-line block ×3, first 2 shown]
	v_sub_f32_e32 v7, v16, v7
	v_add_f32_e32 v16, v12, v15
	v_sub_f32_e32 v19, v20, v19
	v_sub_f32_e32 v18, v117, v18
	ds_write2_b32 v77, v8, v13 offset0:72 offset1:81
	ds_write2_b32 v61, v11, v14 offset1:9
	ds_write2_b32 v61, v25, v129 offset0:18 offset1:27
	ds_write2_b32 v61, v16, v7 offset0:36 offset1:45
	;; [unrolled: 1-line block ×3, first 2 shown]
	v_add_f32_e32 v7, v70, v75
	v_sub_f32_e32 v8, v12, v15
	v_add_f32_e32 v12, v108, v69
	v_add_f32_e32 v117, v69, v78
	v_sub_f32_e32 v72, v72, v24
	v_fma_f32 v111, -0.5, v7, v108
	v_sub_f32_e32 v7, v69, v70
	v_sub_f32_e32 v13, v78, v75
	;; [unrolled: 1-line block ×3, first 2 shown]
	v_add_f32_e32 v10, v12, v70
	v_fma_f32 v108, -0.5, v117, v108
	v_add_f32_e32 v11, v37, v29
	v_fmamk_f32 v112, v72, 0x3f737871, v111
	v_add_f32_e32 v113, v7, v13
	v_add_f32_e32 v7, v10, v75
	v_sub_f32_e32 v69, v70, v69
	v_sub_f32_e32 v70, v75, v78
	v_fmamk_f32 v75, v76, 0xbf737871, v108
	v_fmac_f32_e32 v108, 0x3f737871, v76
	v_add_f32_e32 v11, v11, v23
	v_mul_f32_e32 v114, 0x3f4f1bbd, v140
	v_fmac_f32_e32 v112, 0x3f167918, v76
	v_add_f32_e32 v69, v69, v70
	v_fmac_f32_e32 v75, 0x3f167918, v72
	v_fmac_f32_e32 v108, 0xbf167918, v72
	;; [unrolled: 1-line block ×3, first 2 shown]
	v_add_f32_e32 v115, v11, v17
	v_fmac_f32_e32 v114, 0x3f167918, v143
	v_add_f32_e32 v116, v7, v78
	v_fmac_f32_e32 v112, 0x3e9e377a, v113
	v_mul_f32_e32 v117, 0x3e9e377a, v149
	v_mul_f32_e32 v66, 0xbe9e377a, v66
	v_fmac_f32_e32 v75, 0x3e9e377a, v69
	v_fmac_f32_e32 v108, 0x3e9e377a, v69
	;; [unrolled: 1-line block ×3, first 2 shown]
	v_mul_f32_e32 v69, 0xbf4f1bbd, v135
	v_add_f32_e32 v78, v116, v115
	v_add_f32_e32 v70, v112, v114
	v_fmac_f32_e32 v117, 0x3f737871, v80
	v_fmac_f32_e32 v66, 0x3f737871, v58
	v_add_f32_e32 v72, v57, v62
	v_fmac_f32_e32 v111, 0x3e9e377a, v113
	v_add_f32_e32 v76, v55, v65
	v_fmac_f32_e32 v69, 0x3f167918, v138
	ds_write2_b32 v61, v9, v8 offset0:72 offset1:81
	s_waitcnt lgkmcnt(0)
	s_barrier
	buffer_gl0_inv
	ds_read2_b32 v[9:10], v0 offset1:108
	ds_read2_b32 v[11:12], v96 offset0:48 offset1:156
	ds_read2_b32 v[37:38], v91 offset0:56 offset1:164
	;; [unrolled: 1-line block ×14, first 2 shown]
	s_waitcnt lgkmcnt(0)
	s_barrier
	buffer_gl0_inv
	ds_write2_b32 v74, v78, v70 offset1:9
	v_add_f32_e32 v58, v75, v117
	v_add_f32_e32 v70, v108, v66
	v_sub_f32_e32 v63, v63, v68
	v_fma_f32 v68, -0.5, v72, v109
	v_add_f32_e32 v72, v109, v55
	v_sub_f32_e32 v54, v54, v71
	v_fmac_f32_e32 v109, -0.5, v76
	v_sub_f32_e32 v76, v116, v115
	v_add_f32_e32 v113, v111, v69
	v_sub_f32_e32 v112, v112, v114
	v_sub_f32_e32 v75, v75, v117
	;; [unrolled: 1-line block ×5, first 2 shown]
	ds_write2_b32 v74, v58, v70 offset0:18 offset1:27
	ds_write2_b32 v74, v113, v76 offset0:36 offset1:45
	;; [unrolled: 1-line block ×4, first 2 shown]
	v_add_f32_e32 v58, v72, v57
	v_sub_f32_e32 v55, v55, v57
	v_sub_f32_e32 v57, v65, v62
	v_fmamk_f32 v66, v54, 0x3f737871, v68
	v_fmac_f32_e32 v68, 0xbf737871, v54
	v_sub_f32_e32 v78, v62, v65
	v_fmamk_f32 v80, v63, 0xbf737871, v109
	v_fmac_f32_e32 v109, 0x3f737871, v63
	v_add_f32_e32 v58, v58, v62
	v_add_f32_e32 v62, v105, v64
	;; [unrolled: 1-line block ×3, first 2 shown]
	v_fmac_f32_e32 v66, 0x3f167918, v63
	v_fmac_f32_e32 v68, 0xbf167918, v63
	;; [unrolled: 1-line block ×4, first 2 shown]
	v_add_f32_e32 v54, v62, v67
	v_fmac_f32_e32 v66, 0x3e9e377a, v55
	v_fmac_f32_e32 v68, 0x3e9e377a, v55
	v_mul_f32_e32 v55, 0x3f4f1bbd, v73
	v_mul_f32_e32 v62, 0xbf4f1bbd, v89
	v_add_f32_e32 v57, v58, v65
	v_add_f32_e32 v54, v54, v87
	v_add_f32_e32 v65, v5, v39
	v_fmac_f32_e32 v55, 0x3f167918, v79
	v_fmac_f32_e32 v62, 0x3f167918, v88
	v_add_f32_e32 v69, v39, v22
	v_add_f32_e32 v63, v57, v54
	v_sub_f32_e32 v54, v57, v54
	v_add_f32_e32 v57, v66, v55
	v_sub_f32_e32 v55, v66, v55
	;; [unrolled: 2-line block ×3, first 2 shown]
	v_add_f32_e32 v65, v65, v49
	v_add_f32_e32 v68, v49, v52
	v_sub_f32_e32 v40, v40, v53
	v_sub_f32_e32 v48, v48, v60
	v_sub_f32_e32 v60, v39, v49
	v_add_f32_e32 v53, v65, v52
	v_fma_f32 v65, -0.5, v68, v5
	v_fmac_f32_e32 v5, -0.5, v69
	v_sub_f32_e32 v67, v22, v52
	v_sub_f32_e32 v39, v49, v39
	v_add_f32_e32 v49, v53, v22
	v_sub_f32_e32 v22, v52, v22
	v_fmamk_f32 v53, v40, 0xbf737871, v5
	v_fmac_f32_e32 v5, 0x3f737871, v40
	v_fmamk_f32 v52, v48, 0x3f737871, v65
	v_add_f32_e32 v50, v84, v50
	v_add_f32_e32 v22, v39, v22
	v_fmac_f32_e32 v53, 0x3f167918, v48
	v_fmac_f32_e32 v5, 0xbf167918, v48
	v_add_f32_e32 v71, v71, v78
	v_mul_f32_e32 v58, 0x3e9e377a, v107
	v_add_f32_e32 v60, v60, v67
	v_fmac_f32_e32 v65, 0xbf737871, v48
	v_fmac_f32_e32 v52, 0x3f167918, v40
	v_add_f32_e32 v21, v50, v21
	v_fmac_f32_e32 v53, 0x3e9e377a, v22
	v_fmac_f32_e32 v5, 0x3e9e377a, v22
	v_mul_f32_e32 v22, 0x3f4f1bbd, v59
	v_mul_f32_e32 v56, 0xbe9e377a, v56
	v_fmac_f32_e32 v80, 0x3e9e377a, v71
	v_fmac_f32_e32 v58, 0x3f737871, v106
	;; [unrolled: 1-line block ×4, first 2 shown]
	v_mul_f32_e32 v39, 0x3e9e377a, v86
	v_mul_f32_e32 v6, 0xbe9e377a, v6
	;; [unrolled: 1-line block ×3, first 2 shown]
	v_add_f32_e32 v21, v21, v81
	v_fmac_f32_e32 v22, 0x3f167918, v110
	v_fmac_f32_e32 v56, 0x3f737871, v51
	;; [unrolled: 1-line block ×3, first 2 shown]
	v_add_f32_e32 v64, v80, v58
	v_sub_f32_e32 v58, v80, v58
	v_fmac_f32_e32 v65, 0x3e9e377a, v60
	v_fmac_f32_e32 v39, 0x3f737871, v85
	;; [unrolled: 1-line block ×4, first 2 shown]
	v_add_f32_e32 v48, v49, v21
	v_sub_f32_e32 v49, v49, v21
	v_add_f32_e32 v21, v52, v22
	v_add_nc_u32_e32 v47, 0xffffffa6, v90
	v_add_f32_e32 v51, v109, v56
	v_sub_f32_e32 v56, v109, v56
	v_add_f32_e32 v59, v53, v39
	v_sub_f32_e32 v39, v53, v39
	v_add_f32_e32 v53, v65, v40
	v_cndmask_b32_e64 v47, v47, v90, s0
	ds_write2_b32 v77, v63, v57 offset1:9
	ds_write2_b32 v77, v64, v51 offset0:18 offset1:27
	ds_write2_b32 v77, v66, v54 offset0:36 offset1:45
	;; [unrolled: 1-line block ×4, first 2 shown]
	ds_write2_b32 v61, v48, v21 offset1:9
	v_mov_b32_e32 v48, 0x2d83
	v_sub_f32_e32 v50, v52, v22
	v_add_f32_e32 v22, v5, v6
	v_sub_f32_e32 v52, v5, v6
	v_mul_i32_i24_e32 v5, 5, v47
	v_mov_b32_e32 v6, 0
	ds_write2_b32 v61, v53, v49 offset0:36 offset1:45
	v_mul_u32_u24_sdwa v49, v43, v48 dst_sel:DWORD dst_unused:UNUSED_PAD src0_sel:WORD_0 src1_sel:DWORD
	v_sub_f32_e32 v40, v65, v40
	ds_write2_b32 v61, v59, v22 offset0:18 offset1:27
	v_lshlrev_b64 v[21:22], 3, v[5:6]
	v_mul_lo_u16 v5, 0x5a, v46
	ds_write2_b32 v61, v50, v39 offset0:54 offset1:63
	ds_write2_b32 v61, v52, v40 offset0:72 offset1:81
	v_lshrrev_b32_e32 v39, 20, v49
	v_mul_u32_u24_sdwa v49, v44, v48 dst_sel:DWORD dst_unused:UNUSED_PAD src0_sel:WORD_0 src1_sel:DWORD
	s_waitcnt lgkmcnt(0)
	v_sub_nc_u16 v69, v45, v5
	v_mov_b32_e32 v5, 5
	v_mul_lo_u16 v45, 0x5a, v39
	v_add_co_u32 v21, s0, s12, v21
	v_add_co_ci_u32_e64 v22, s0, s13, v22, s0
	v_mul_u32_u24_sdwa v40, v69, v5 dst_sel:DWORD dst_unused:UNUSED_PAD src0_sel:BYTE_0 src1_sel:DWORD
	v_sub_nc_u16 v63, v43, v45
	v_lshrrev_b32_e32 v45, 20, v49
	s_barrier
	buffer_gl0_inv
	v_lshlrev_b32_e32 v40, 3, v40
	global_load_dwordx4 v[52:55], v[21:22], off offset:696
	v_mul_u32_u24_sdwa v43, v41, v48 dst_sel:DWORD dst_unused:UNUSED_PAD src0_sel:WORD_0 src1_sel:DWORD
	v_mul_lo_u16 v50, 0x5a, v45
	v_mul_u32_u24_sdwa v48, v63, v5 dst_sel:DWORD dst_unused:UNUSED_PAD src0_sel:WORD_0 src1_sel:DWORD
	global_load_dwordx4 v[57:60], v40, s[12:13] offset:696
	v_cmp_lt_u32_e64 s0, 0x59, v90
	v_lshrrev_b32_e32 v49, 20, v43
	v_sub_nc_u16 v66, v44, v50
	v_lshlrev_b32_e32 v43, 3, v48
	v_lshlrev_b32_e32 v47, 2, v47
	v_mul_lo_u16 v44, 0x5a, v49
	v_mul_u32_u24_sdwa v48, v66, v5 dst_sel:DWORD dst_unused:UNUSED_PAD src0_sel:WORD_0 src1_sel:DWORD
	global_load_dwordx4 v[72:75], v43, s[12:13] offset:696
	v_sub_nc_u16 v51, v41, v44
	v_lshlrev_b32_e32 v44, 3, v48
	v_mul_u32_u24_sdwa v5, v51, v5 dst_sel:DWORD dst_unused:UNUSED_PAD src0_sel:WORD_0 src1_sel:DWORD
	global_load_dwordx4 v[77:80], v44, s[12:13] offset:696
	v_lshlrev_b32_e32 v5, 3, v5
	s_clause 0xa
	global_load_dwordx4 v[81:84], v5, s[12:13] offset:696
	global_load_dwordx4 v[85:88], v[21:22], off offset:712
	global_load_dwordx4 v[105:108], v40, s[12:13] offset:712
	global_load_dwordx4 v[109:112], v43, s[12:13] offset:712
	;; [unrolled: 1-line block ×4, first 2 shown]
	global_load_dwordx2 v[121:122], v[21:22], off offset:728
	global_load_dwordx2 v[123:124], v40, s[12:13] offset:728
	global_load_dwordx2 v[125:126], v43, s[12:13] offset:728
	;; [unrolled: 1-line block ×4, first 2 shown]
	ds_read2_b32 v[21:22], v96 offset0:48 offset1:156
	ds_read2_b32 v[43:44], v91 offset0:56 offset1:164
	;; [unrolled: 1-line block ×4, first 2 shown]
	s_waitcnt vmcnt(14) lgkmcnt(3)
	v_mul_f32_e32 v68, v22, v53
	v_mul_f32_e32 v5, v12, v53
	;; [unrolled: 1-line block ×3, first 2 shown]
	s_waitcnt lgkmcnt(2)
	v_mul_f32_e32 v76, v43, v55
	s_waitcnt vmcnt(13)
	v_mul_f32_e32 v62, v44, v60
	v_fmac_f32_e32 v68, v12, v52
	v_fma_f32 v71, v22, v52, -v5
	v_mul_f32_e32 v5, v38, v60
	ds_read2_b32 v[52:53], v102 offset0:96 offset1:204
	s_waitcnt lgkmcnt(2)
	v_mul_f32_e32 v56, v131, v58
	v_fmac_f32_e32 v62, v38, v59
	v_mul_f32_e32 v22, v33, v58
	v_fma_f32 v67, v44, v59, -v5
	ds_read2_b32 v[58:59], v100 offset0:104 offset1:212
	v_fma_f32 v12, v43, v54, -v40
	v_fmac_f32_e32 v56, v33, v57
	s_waitcnt vmcnt(12)
	v_mul_f32_e32 v5, v132, v73
	v_mul_f32_e32 v33, v34, v73
	s_waitcnt lgkmcnt(2)
	v_mul_f32_e32 v40, v133, v75
	v_fmac_f32_e32 v76, v37, v54
	v_mul_f32_e32 v37, v31, v75
	v_fma_f32 v65, v131, v57, -v22
	v_fmac_f32_e32 v5, v34, v72
	v_fma_f32 v38, v132, v72, -v33
	v_fmac_f32_e32 v40, v31, v74
	s_waitcnt vmcnt(11)
	v_mul_f32_e32 v57, v134, v80
	ds_read2_b32 v[33:34], v92 offset0:112 offset1:220
	v_mul_f32_e32 v31, v35, v78
	v_mul_f32_e32 v22, v32, v80
	s_waitcnt lgkmcnt(2)
	v_mul_f32_e32 v44, v52, v78
	v_fmac_f32_e32 v57, v32, v79
	v_fma_f32 v43, v133, v74, -v37
	v_fma_f32 v52, v52, v77, -v31
	ds_read2_b32 v[31:32], v98 offset0:64 offset1:172
	v_fma_f32 v61, v134, v79, -v22
	s_waitcnt vmcnt(10)
	v_mul_f32_e32 v22, v36, v82
	s_waitcnt lgkmcnt(2)
	v_mul_f32_e32 v54, v58, v84
	s_waitcnt vmcnt(9)
	v_mul_f32_e32 v37, v59, v86
	v_mul_f32_e32 v48, v53, v82
	v_fmac_f32_e32 v44, v35, v77
	v_mul_f32_e32 v35, v29, v84
	v_fma_f32 v53, v53, v81, -v22
	v_mul_f32_e32 v22, v30, v86
	v_fmac_f32_e32 v54, v29, v83
	v_fmac_f32_e32 v37, v30, v85
	ds_read2_b32 v[29:30], v95 offset0:72 offset1:180
	v_fmac_f32_e32 v48, v36, v81
	v_fma_f32 v58, v58, v83, -v35
	v_fma_f32 v79, v59, v85, -v22
	s_waitcnt lgkmcnt(2)
	v_mul_f32_e32 v22, v33, v88
	v_mul_f32_e32 v50, v25, v88
	s_waitcnt vmcnt(8)
	v_mul_f32_e32 v55, v26, v108
	ds_read2_b32 v[35:36], v103 offset0:24 offset1:132
	v_mul_f32_e32 v74, v34, v108
	v_fmac_f32_e32 v22, v25, v87
	v_fma_f32 v25, v33, v87, -v50
	s_waitcnt lgkmcnt(2)
	v_mul_f32_e32 v80, v31, v106
	v_fma_f32 v75, v34, v107, -v55
	v_mul_f32_e32 v50, v23, v106
	s_waitcnt vmcnt(7)
	v_mul_f32_e32 v55, v24, v110
	v_fmac_f32_e32 v74, v26, v107
	v_mul_f32_e32 v26, v32, v110
	v_fmac_f32_e32 v80, v23, v105
	ds_read2_b32 v[33:34], v101 offset0:32 offset1:140
	v_fma_f32 v81, v31, v105, -v50
	v_fma_f32 v23, v32, v109, -v55
	ds_read2_b32 v[31:32], v99 offset0:120 offset1:228
	s_waitcnt lgkmcnt(3)
	v_mul_f32_e32 v59, v29, v112
	s_waitcnt vmcnt(6)
	v_mul_f32_e32 v73, v30, v116
	v_fmac_f32_e32 v26, v24, v109
	v_mul_f32_e32 v24, v27, v112
	v_mul_f32_e32 v50, v28, v116
	v_fmac_f32_e32 v59, v27, v111
	s_waitcnt lgkmcnt(2)
	v_mul_f32_e32 v83, v35, v114
	v_fmac_f32_e32 v73, v28, v115
	ds_read2_b32 v[27:28], v104 offset0:80 offset1:188
	v_fma_f32 v60, v29, v111, -v24
	v_fma_f32 v50, v30, v115, -v50
	v_mul_f32_e32 v24, v19, v114
	v_fmac_f32_e32 v83, v19, v113
	s_waitcnt vmcnt(5)
	v_mul_f32_e32 v19, v36, v118
	v_mul_f32_e32 v29, v20, v118
	;; [unrolled: 1-line block ×3, first 2 shown]
	s_waitcnt lgkmcnt(2)
	v_mul_f32_e32 v72, v33, v120
	v_add_f32_e32 v87, v65, v81
	v_fmac_f32_e32 v19, v20, v117
	v_fma_f32 v20, v36, v117, -v29
	s_waitcnt vmcnt(4)
	v_mul_f32_e32 v29, v34, v122
	v_fma_f32 v55, v33, v119, -v30
	s_waitcnt vmcnt(3) lgkmcnt(1)
	v_mul_f32_e32 v30, v31, v124
	v_mul_f32_e32 v33, v15, v124
	v_fmac_f32_e32 v72, v17, v119
	v_mul_f32_e32 v17, v18, v122
	v_fmac_f32_e32 v29, v18, v121
	s_waitcnt vmcnt(2)
	v_mul_f32_e32 v18, v32, v126
	v_fmac_f32_e32 v30, v15, v123
	v_mul_f32_e32 v15, v16, v126
	v_fma_f32 v77, v31, v123, -v33
	s_waitcnt vmcnt(0)
	v_mul_f32_e32 v31, v14, v130
	v_fmac_f32_e32 v18, v16, v125
	s_waitcnt lgkmcnt(0)
	v_mul_f32_e32 v16, v27, v128
	v_fma_f32 v70, v32, v125, -v15
	v_mul_f32_e32 v32, v13, v128
	v_mul_f32_e32 v15, v28, v130
	v_fma_f32 v64, v28, v129, -v31
	v_fmac_f32_e32 v16, v13, v127
	v_add_f32_e32 v13, v54, v72
	v_fma_f32 v78, v27, v127, -v32
	v_fmac_f32_e32 v15, v14, v129
	v_add_f32_e32 v27, v20, v64
	v_add_f32_e32 v14, v11, v54
	v_fmac_f32_e32 v11, -0.5, v13
	v_sub_f32_e32 v13, v58, v55
	v_add_f32_e32 v28, v19, v15
	v_add_f32_e32 v84, v53, v20
	v_fmac_f32_e32 v53, -0.5, v27
	v_sub_f32_e32 v27, v19, v15
	v_add_f32_e32 v19, v48, v19
	v_fmac_f32_e32 v48, -0.5, v28
	v_sub_f32_e32 v20, v20, v64
	v_fmamk_f32 v28, v13, 0xbf5db3d7, v11
	v_fmamk_f32 v85, v27, 0x3f5db3d7, v53
	v_fmac_f32_e32 v53, 0xbf5db3d7, v27
	v_fmac_f32_e32 v11, 0x3f5db3d7, v13
	v_add_f32_e32 v13, v81, v77
	v_fmamk_f32 v86, v20, 0xbf5db3d7, v48
	v_fmac_f32_e32 v48, 0x3f5db3d7, v20
	v_mul_f32_e32 v20, 0xbf5db3d7, v53
	v_add_f32_e32 v27, v62, v74
	v_add_f32_e32 v31, v80, v30
	v_fmac_f32_e32 v65, -0.5, v13
	v_sub_f32_e32 v13, v80, v30
	v_fma_f32 v17, v34, v121, -v17
	v_add_f32_e32 v32, v10, v62
	v_add_f32_e32 v33, v56, v80
	v_fmac_f32_e32 v56, -0.5, v31
	v_sub_f32_e32 v31, v81, v77
	v_fmamk_f32 v88, v13, 0x3f5db3d7, v65
	v_fmac_f32_e32 v65, 0xbf5db3d7, v13
	v_fmac_f32_e32 v10, -0.5, v27
	v_sub_f32_e32 v13, v67, v75
	v_fmac_f32_e32 v20, -0.5, v48
	v_fmamk_f32 v89, v31, 0xbf5db3d7, v56
	v_fmac_f32_e32 v56, 0x3f5db3d7, v31
	v_mul_f32_e32 v27, 0xbf5db3d7, v65
	v_fmamk_f32 v31, v13, 0xbf5db3d7, v10
	v_fmac_f32_e32 v10, 0x3f5db3d7, v13
	v_add_f32_e32 v13, v11, v20
	v_sub_f32_e32 v11, v11, v20
	v_add_f32_e32 v20, v79, v17
	v_fmac_f32_e32 v27, -0.5, v56
	v_add_f32_e32 v36, v37, v29
	v_add_f32_e32 v105, v71, v79
	v_fma_f32 v24, v35, v113, -v24
	v_fmac_f32_e32 v71, -0.5, v20
	v_sub_f32_e32 v20, v37, v29
	v_add_f32_e32 v34, v76, v22
	v_add_f32_e32 v35, v10, v27
	v_sub_f32_e32 v10, v10, v27
	v_add_f32_e32 v27, v68, v37
	v_fmac_f32_e32 v68, -0.5, v36
	v_sub_f32_e32 v36, v79, v17
	v_fmamk_f32 v37, v20, 0x3f5db3d7, v71
	v_fma_f32 v34, -0.5, v34, v9
	v_add_f32_e32 v9, v9, v76
	v_add_f32_e32 v27, v27, v29
	v_fmamk_f32 v106, v36, 0xbf5db3d7, v68
	v_mul_f32_e32 v107, 0xbf5db3d7, v37
	v_sub_f32_e32 v29, v12, v25
	v_fmac_f32_e32 v71, 0xbf5db3d7, v20
	v_cndmask_b32_e64 v79, 0, 0x870, s0
	v_add_f32_e32 v9, v9, v22
	v_fmac_f32_e32 v107, 0.5, v106
	v_fmamk_f32 v20, v29, 0xbf5db3d7, v34
	v_fmac_f32_e32 v68, 0x3f5db3d7, v36
	v_mul_f32_e32 v36, 0xbf5db3d7, v71
	v_fmac_f32_e32 v34, 0x3f5db3d7, v29
	v_mov_b32_e32 v29, 0x870
	v_add3_u32 v47, 0, v79, v47
	v_add_f32_e32 v108, v9, v27
	v_add_f32_e32 v109, v20, v107
	v_fmac_f32_e32 v36, -0.5, v68
	v_mul_u32_u24_sdwa v29, v46, v29 dst_sel:DWORD dst_unused:UNUSED_PAD src0_sel:WORD_0 src1_sel:DWORD
	v_lshlrev_b32_sdwa v46, v42, v69 dst_sel:DWORD dst_unused:UNUSED_PAD src0_sel:DWORD src1_sel:BYTE_0
	ds_read2_b32 v[79:80], v0 offset1:108
	ds_read2_b32 v[81:82], v93 offset0:88 offset1:196
	s_waitcnt lgkmcnt(0)
	s_barrier
	buffer_gl0_inv
	ds_write2_b32 v47, v108, v109 offset1:90
	v_sub_f32_e32 v9, v9, v27
	v_add_f32_e32 v27, v34, v36
	v_add_nc_u32_e32 v108, 0x200, v47
	v_sub_f32_e32 v34, v34, v36
	v_mul_f32_e32 v36, 0xbf5db3d7, v88
	v_add_f32_e32 v30, v33, v30
	v_add_f32_e32 v32, v32, v74
	v_add3_u32 v46, 0, v29, v46
	v_add_f32_e32 v29, v24, v78
	v_sub_f32_e32 v20, v20, v107
	v_add_nc_u32_e32 v107, 0x400, v47
	v_fmac_f32_e32 v36, 0.5, v89
	ds_write2_b32 v108, v27, v9 offset0:52 offset1:142
	v_add_f32_e32 v9, v32, v30
	v_sub_f32_e32 v27, v32, v30
	v_add_f32_e32 v32, v83, v16
	v_add_f32_e32 v109, v52, v24
	v_fmac_f32_e32 v52, -0.5, v29
	v_sub_f32_e32 v29, v83, v16
	ds_write2_b32 v107, v20, v34 offset0:104 offset1:194
	v_add_f32_e32 v20, v31, v36
	v_sub_f32_e32 v30, v31, v36
	v_add_f32_e32 v31, v57, v73
	v_add_f32_e32 v34, v44, v83
	v_fmac_f32_e32 v44, -0.5, v32
	v_sub_f32_e32 v24, v24, v78
	v_fmamk_f32 v83, v29, 0x3f5db3d7, v52
	v_fmac_f32_e32 v52, 0xbf5db3d7, v29
	v_add_f32_e32 v33, v8, v57
	v_fmac_f32_e32 v8, -0.5, v31
	v_sub_f32_e32 v29, v61, v50
	v_fmamk_f32 v110, v24, 0xbf5db3d7, v44
	v_fmac_f32_e32 v44, 0x3f5db3d7, v24
	v_mul_f32_e32 v24, 0xbf5db3d7, v52
	v_add_nc_u32_e32 v69, 0x200, v46
	v_add_nc_u32_e32 v111, 0x400, v46
	v_fmamk_f32 v31, v29, 0xbf5db3d7, v8
	v_fmac_f32_e32 v8, 0x3f5db3d7, v29
	v_fmac_f32_e32 v24, -0.5, v44
	ds_write2_b32 v46, v9, v20 offset1:90
	ds_write2_b32 v69, v35, v27 offset0:52 offset1:142
	ds_write2_b32 v111, v30, v10 offset0:104 offset1:194
	v_add_f32_e32 v20, v23, v70
	v_add_f32_e32 v112, v38, v23
	;; [unrolled: 1-line block ×4, first 2 shown]
	v_sub_f32_e32 v8, v8, v24
	v_add_f32_e32 v24, v26, v18
	v_fmac_f32_e32 v38, -0.5, v20
	v_sub_f32_e32 v20, v26, v18
	v_add_f32_e32 v27, v5, v26
	v_sub_f32_e32 v23, v23, v70
	v_fmac_f32_e32 v5, -0.5, v24
	v_fma_f32 v9, -0.5, v29, v7
	v_fmamk_f32 v113, v20, 0x3f5db3d7, v38
	v_add_f32_e32 v18, v27, v18
	v_mul_u32_u24_e32 v24, 0x870, v39
	v_fmac_f32_e32 v38, 0xbf5db3d7, v20
	v_fmamk_f32 v39, v23, 0xbf5db3d7, v5
	v_mul_f32_e32 v20, 0xbf5db3d7, v113
	v_sub_f32_e32 v27, v43, v60
	v_lshlrev_b32_sdwa v26, v42, v63 dst_sel:DWORD dst_unused:UNUSED_PAD src0_sel:DWORD src1_sel:WORD_0
	v_add_f32_e32 v7, v7, v40
	v_fmac_f32_e32 v5, 0x3f5db3d7, v23
	v_fmac_f32_e32 v20, 0.5, v39
	v_fmamk_f32 v29, v27, 0xbf5db3d7, v9
	v_mul_f32_e32 v23, 0xbf5db3d7, v38
	v_fmac_f32_e32 v9, 0x3f5db3d7, v27
	v_mul_f32_e32 v27, 0xbf5db3d7, v83
	v_add3_u32 v63, 0, v24, v26
	v_add_f32_e32 v26, v29, v20
	v_sub_f32_e32 v20, v29, v20
	v_mul_u32_u24_e32 v29, 0x870, v45
	v_lshlrev_b32_sdwa v30, v42, v66 dst_sel:DWORD dst_unused:UNUSED_PAD src0_sel:DWORD src1_sel:WORD_0
	v_add_f32_e32 v7, v7, v59
	v_fmac_f32_e32 v23, -0.5, v5
	v_add_f32_e32 v16, v34, v16
	v_add_f32_e32 v32, v33, v73
	v_fmac_f32_e32 v27, 0.5, v110
	v_add3_u32 v45, 0, v29, v30
	v_add_f32_e32 v24, v7, v18
	v_sub_f32_e32 v7, v7, v18
	v_add_f32_e32 v18, v9, v23
	v_add_nc_u32_e32 v114, 0x200, v63
	v_sub_f32_e32 v9, v9, v23
	v_add_nc_u32_e32 v66, 0x400, v63
	v_add_f32_e32 v23, v32, v16
	v_add_f32_e32 v29, v31, v27
	v_sub_f32_e32 v16, v32, v16
	v_add_nc_u32_e32 v115, 0x200, v45
	ds_write2_b32 v63, v24, v26 offset1:90
	ds_write2_b32 v114, v18, v7 offset0:52 offset1:142
	ds_write2_b32 v66, v20, v9 offset0:104 offset1:194
	ds_write2_b32 v45, v23, v29 offset1:90
	ds_write2_b32 v115, v10, v16 offset0:52 offset1:142
	v_lshlrev_b32_sdwa v9, v42, v51 dst_sel:DWORD dst_unused:UNUSED_PAD src0_sel:DWORD src1_sel:WORD_0
	v_mul_u32_u24_e32 v10, 0x870, v49
	v_mul_f32_e32 v7, 0xbf5db3d7, v85
	v_add_f32_e32 v15, v19, v15
	v_add_f32_e32 v14, v14, v72
	v_sub_f32_e32 v16, v31, v27
	v_add3_u32 v42, 0, v10, v9
	v_fmac_f32_e32 v7, 0.5, v86
	v_add_nc_u32_e32 v49, 0x400, v45
	v_add_f32_e32 v9, v14, v15
	v_sub_f32_e32 v14, v14, v15
	v_add_nc_u32_e32 v51, 0x200, v42
	v_add_f32_e32 v10, v28, v7
	v_sub_f32_e32 v7, v28, v7
	v_add_nc_u32_e32 v116, 0x400, v42
	ds_write2_b32 v49, v16, v8 offset0:104 offset1:194
	ds_write2_b32 v42, v9, v10 offset1:90
	ds_write2_b32 v51, v13, v14 offset0:52 offset1:142
	ds_write2_b32 v116, v7, v11 offset0:104 offset1:194
	v_add_f32_e32 v7, v12, v25
	v_add_f32_e32 v8, v79, v12
	v_mul_f32_e32 v117, 0.5, v37
	v_sub_f32_e32 v76, v76, v22
	v_add_f32_e32 v105, v105, v17
	v_fma_f32 v79, -0.5, v7, v79
	v_add_f32_e32 v118, v8, v25
	v_fmac_f32_e32 v117, 0x3f5db3d7, v106
	v_mul_f32_e32 v71, -0.5, v71
	s_waitcnt lgkmcnt(0)
	v_fmamk_f32 v106, v76, 0x3f5db3d7, v79
	v_fmac_f32_e32 v79, 0xbf5db3d7, v76
	s_barrier
	v_fmac_f32_e32 v71, 0x3f5db3d7, v68
	v_add_f32_e32 v68, v118, v105
	v_add_f32_e32 v76, v106, v117
	buffer_gl0_inv
	ds_read2_b32 v[7:8], v0 offset1:108
	ds_read2_b32 v[13:14], v96 offset0:48 offset1:156
	ds_read2_b32 v[9:10], v91 offset0:56 offset1:164
	;; [unrolled: 1-line block ×14, first 2 shown]
	s_waitcnt lgkmcnt(0)
	s_barrier
	buffer_gl0_inv
	ds_write2_b32 v47, v68, v76 offset1:90
	v_add_f32_e32 v47, v67, v75
	v_add_f32_e32 v67, v80, v67
	v_sub_f32_e32 v62, v62, v74
	v_mul_f32_e32 v65, -0.5, v65
	v_add_f32_e32 v74, v87, v77
	v_fmac_f32_e32 v80, -0.5, v47
	v_mul_f32_e32 v47, 0.5, v88
	v_add_f32_e32 v67, v67, v75
	v_sub_f32_e32 v105, v118, v105
	v_add_f32_e32 v118, v79, v71
	v_fmamk_f32 v75, v62, 0x3f5db3d7, v80
	v_fmac_f32_e32 v47, 0x3f5db3d7, v89
	v_sub_f32_e32 v68, v106, v117
	v_sub_f32_e32 v71, v79, v71
	v_fmac_f32_e32 v80, 0xbf5db3d7, v62
	v_fmac_f32_e32 v65, 0x3f5db3d7, v56
	v_add_f32_e32 v56, v67, v74
	v_add_f32_e32 v62, v75, v47
	ds_write2_b32 v107, v68, v71 offset0:104 offset1:194
	v_sub_f32_e32 v67, v67, v74
	v_add_f32_e32 v71, v80, v65
	ds_write2_b32 v108, v118, v105 offset0:52 offset1:142
	v_add_f32_e32 v68, v61, v50
	ds_write2_b32 v46, v56, v62 offset1:90
	ds_write2_b32 v69, v71, v67 offset0:52 offset1:142
	v_add_f32_e32 v46, v58, v55
	v_sub_f32_e32 v65, v80, v65
	v_sub_f32_e32 v47, v75, v47
	v_add_f32_e32 v61, v82, v61
	v_fmac_f32_e32 v82, -0.5, v68
	v_sub_f32_e32 v57, v57, v73
	v_mul_f32_e32 v52, -0.5, v52
	v_add_f32_e32 v56, v21, v58
	v_fmac_f32_e32 v21, -0.5, v46
	v_sub_f32_e32 v46, v54, v72
	v_mul_f32_e32 v53, -0.5, v53
	ds_write2_b32 v111, v47, v65 offset0:104 offset1:194
	v_fmamk_f32 v47, v57, 0x3f5db3d7, v82
	v_fmac_f32_e32 v82, 0xbf5db3d7, v57
	v_fmac_f32_e32 v52, 0x3f5db3d7, v44
	v_add_f32_e32 v44, v43, v60
	v_fmamk_f32 v54, v46, 0x3f5db3d7, v21
	v_fmac_f32_e32 v21, 0xbf5db3d7, v46
	v_fmac_f32_e32 v53, 0x3f5db3d7, v48
	v_add_f32_e32 v43, v81, v43
	v_fma_f32 v44, -0.5, v44, v81
	v_add_f32_e32 v46, v82, v52
	v_sub_f32_e32 v48, v82, v52
	v_add_f32_e32 v52, v21, v53
	v_sub_f32_e32 v21, v21, v53
	v_sub_f32_e32 v40, v40, v59
	v_mul_f32_e32 v53, 0.5, v113
	v_mul_f32_e32 v38, -0.5, v38
	v_add_f32_e32 v43, v43, v60
	v_add_f32_e32 v57, v112, v70
	v_fmamk_f32 v58, v40, 0x3f5db3d7, v44
	v_fmac_f32_e32 v53, 0x3f5db3d7, v39
	v_fmac_f32_e32 v44, 0xbf5db3d7, v40
	;; [unrolled: 1-line block ×3, first 2 shown]
	v_add_f32_e32 v5, v43, v57
	v_sub_f32_e32 v39, v43, v57
	v_add_f32_e32 v40, v58, v53
	v_sub_f32_e32 v43, v58, v53
	v_mul_f32_e32 v53, 0.5, v83
	v_add_f32_e32 v58, v44, v38
	v_sub_f32_e32 v38, v44, v38
	v_mul_f32_e32 v44, 0.5, v85
	v_add_f32_e32 v50, v61, v50
	v_add_f32_e32 v57, v109, v78
	v_fmac_f32_e32 v53, 0x3f5db3d7, v110
	v_add_f32_e32 v55, v56, v55
	v_add_f32_e32 v56, v84, v64
	v_fmac_f32_e32 v44, 0x3f5db3d7, v86
	v_add_f32_e32 v59, v50, v57
	v_sub_f32_e32 v50, v50, v57
	v_add_f32_e32 v57, v47, v53
	v_sub_f32_e32 v47, v47, v53
	;; [unrolled: 2-line block ×4, first 2 shown]
	ds_write2_b32 v63, v5, v40 offset1:90
	ds_write2_b32 v114, v58, v39 offset0:52 offset1:142
	ds_write2_b32 v66, v43, v38 offset0:104 offset1:194
	ds_write2_b32 v45, v59, v57 offset1:90
	ds_write2_b32 v115, v46, v50 offset0:52 offset1:142
	ds_write2_b32 v49, v47, v48 offset0:104 offset1:194
	;; [unrolled: 3-line block ×3, first 2 shown]
	s_waitcnt lgkmcnt(0)
	s_barrier
	buffer_gl0_inv
	s_and_saveexec_b32 s0, vcc_lo
	s_cbranch_execz .LBB0_15
; %bb.14:
	v_mul_u32_u24_e32 v5, 5, v41
	v_mul_u32_u24_e32 v42, 5, v90
	v_mul_lo_u32 v120, s2, v4
	v_mad_u64_u32 v[106:107], null, s2, v3, 0
	v_lshlrev_b32_e32 v21, 3, v5
	v_mad_u32_u24 v5, v41, 5, 0xfffffde4
	v_add_co_u32 v21, s0, s12, v21
	v_add_co_ci_u32_e64 v40, null, s13, 0, s0
	v_lshlrev_b64 v[50:51], 3, v[5:6]
	v_lshlrev_b32_e32 v5, 3, v42
	v_add_co_u32 v38, vcc_lo, 0x1000, v21
	v_add_co_ci_u32_e32 v39, vcc_lo, 0, v40, vcc_lo
	v_add_co_u32 v46, vcc_lo, 0x10c8, v21
	v_add_co_u32 v5, s0, s12, v5
	v_add_co_ci_u32_e32 v47, vcc_lo, 0, v40, vcc_lo
	v_add_co_ci_u32_e64 v21, null, s13, 0, s0
	v_add_co_u32 v40, vcc_lo, s12, v50
	v_add_co_ci_u32_e32 v60, vcc_lo, s13, v51, vcc_lo
	s_clause 0x2
	global_load_dwordx4 v[42:45], v[38:39], off offset:200
	global_load_dwordx2 v[78:79], v[46:47], off offset:32
	global_load_dwordx4 v[46:49], v[46:47], off offset:16
	v_add_co_u32 v38, vcc_lo, 0x10c8, v5
	v_add_co_ci_u32_e32 v39, vcc_lo, 0, v21, vcc_lo
	v_add_co_u32 v50, vcc_lo, 0x1000, v5
	v_add_co_ci_u32_e32 v51, vcc_lo, 0, v21, vcc_lo
	;; [unrolled: 2-line block ×3, first 2 shown]
	s_clause 0x2
	global_load_dwordx4 v[50:53], v[50:51], off offset:200
	global_load_dwordx2 v[80:81], v[38:39], off offset:32
	global_load_dwordx4 v[54:57], v[38:39], off offset:16
	v_add_co_u32 v38, vcc_lo, 0x10c8, v40
	v_mad_u32_u24 v5, v41, 5, 0xfffffbc8
	v_add_co_ci_u32_e32 v39, vcc_lo, 0, v60, vcc_lo
	s_clause 0x2
	global_load_dwordx4 v[58:61], v[58:59], off offset:200
	global_load_dwordx4 v[62:65], v[38:39], off offset:16
	global_load_dwordx2 v[82:83], v[38:39], off offset:32
	v_lshlrev_b64 v[38:39], 3, v[5:6]
	v_add_co_u32 v5, vcc_lo, s12, v38
	v_add_co_ci_u32_e32 v21, vcc_lo, s13, v39, vcc_lo
	v_add_co_u32 v38, vcc_lo, 0x1000, v5
	v_add_co_ci_u32_e32 v39, vcc_lo, 0, v21, vcc_lo
	v_add_co_u32 v74, vcc_lo, 0x10c8, v5
	v_mad_u32_u24 v5, v41, 5, 0xfffff9ac
	v_add_co_ci_u32_e32 v75, vcc_lo, 0, v21, vcc_lo
	s_clause 0x2
	global_load_dwordx4 v[66:69], v[38:39], off offset:200
	global_load_dwordx4 v[70:73], v[74:75], off offset:16
	global_load_dwordx2 v[84:85], v[74:75], off offset:32
	v_lshlrev_b64 v[38:39], 3, v[5:6]
	v_add_co_u32 v5, vcc_lo, s12, v38
	v_add_co_ci_u32_e32 v21, vcc_lo, s13, v39, vcc_lo
	v_add_co_u32 v38, vcc_lo, 0x1000, v5
	v_add_co_ci_u32_e32 v39, vcc_lo, 0, v21, vcc_lo
	;; [unrolled: 2-line block ×3, first 2 shown]
	s_clause 0x2
	global_load_dwordx4 v[38:41], v[38:39], off offset:200
	global_load_dwordx4 v[74:77], v[86:87], off offset:16
	global_load_dwordx2 v[86:87], v[86:87], off offset:32
	ds_read2_b32 v[4:5], v100 offset0:104 offset1:212
	ds_read2_b32 v[88:89], v101 offset0:32 offset1:140
	;; [unrolled: 1-line block ×12, first 2 shown]
	ds_read2_b32 v[116:117], v0 offset1:108
	ds_read2_b32 v[118:119], v91 offset0:56 offset1:164
	ds_read2_b32 v[91:92], v92 offset0:112 offset1:220
	v_mul_lo_u32 v21, s3, v3
	v_add3_u32 v107, v107, v120, v21
	s_waitcnt vmcnt(14)
	v_mul_f32_e32 v0, v15, v45
	s_waitcnt lgkmcnt(14)
	v_mul_f32_e32 v21, v4, v45
	s_waitcnt vmcnt(12)
	v_mul_f32_e32 v3, v17, v49
	s_waitcnt lgkmcnt(13)
	v_mul_f32_e32 v45, v88, v49
	s_waitcnt lgkmcnt(12)
	;; [unrolled: 2-line block ×4, first 2 shown]
	v_mul_f32_e32 v120, v79, v105
	v_mul_f32_e32 v47, v35, v47
	;; [unrolled: 1-line block ×4, first 2 shown]
	v_fma_f32 v0, v44, v4, -v0
	v_fma_f32 v3, v48, v88, -v3
	v_fmac_f32_e32 v21, v15, v44
	v_fmac_f32_e32 v45, v17, v48
	;; [unrolled: 1-line block ×3, first 2 shown]
	s_waitcnt vmcnt(9)
	v_mul_f32_e32 v123, v55, v5
	v_mul_f32_e32 v55, v16, v55
	v_fmac_f32_e32 v99, v35, v46
	v_fmac_f32_e32 v120, v37, v78
	v_fma_f32 v4, v46, v103, -v47
	v_fma_f32 v17, v42, v101, -v43
	s_waitcnt vmcnt(8)
	v_mul_f32_e32 v126, v29, v61
	s_waitcnt vmcnt(7)
	v_mul_f32_e32 v127, v31, v65
	s_waitcnt lgkmcnt(7)
	v_mul_f32_e32 v61, v94, v61
	s_waitcnt lgkmcnt(6)
	v_mul_f32_e32 v65, v96, v65
	v_mul_f32_e32 v128, v59, v100
	;; [unrolled: 1-line block ×3, first 2 shown]
	s_waitcnt vmcnt(6)
	v_mul_f32_e32 v130, v83, v104
	v_mul_f32_e32 v63, v34, v63
	;; [unrolled: 1-line block ×4, first 2 shown]
	v_fma_f32 v5, v54, v5, -v55
	v_fma_f32 v33, v60, v94, -v126
	;; [unrolled: 1-line block ×3, first 2 shown]
	v_fmac_f32_e32 v61, v29, v60
	v_fmac_f32_e32 v65, v31, v64
	v_fmac_f32_e32 v128, v32, v58
	v_fmac_f32_e32 v129, v34, v62
	v_fma_f32 v29, v62, v102, -v63
	v_fma_f32 v31, v82, v104, -v83
	;; [unrolled: 1-line block ×4, first 2 shown]
	v_fmac_f32_e32 v130, v36, v82
	v_sub_f32_e32 v59, v21, v45
	s_waitcnt vmcnt(5)
	v_mul_f32_e32 v34, v28, v69
	v_mul_f32_e32 v37, v93, v69
	s_waitcnt vmcnt(4)
	v_mul_f32_e32 v42, v95, v73
	s_waitcnt lgkmcnt(5)
	v_mul_f32_e32 v43, v67, v113
	s_waitcnt lgkmcnt(4)
	v_mul_f32_e32 v44, v71, v98
	s_waitcnt vmcnt(3) lgkmcnt(3)
	v_mul_f32_e32 v46, v85, v115
	v_mul_f32_e32 v47, v25, v71
	;; [unrolled: 1-line block ×5, first 2 shown]
	v_add_f32_e32 v60, v99, v120
	v_sub_f32_e32 v64, v99, v120
	v_add_f32_e32 v67, v108, v0
	v_add_f32_e32 v69, v21, v45
	;; [unrolled: 1-line block ×5, first 2 shown]
	v_sub_f32_e32 v83, v61, v65
	v_sub_f32_e32 v88, v29, v31
	v_add_f32_e32 v94, v29, v31
	v_add_f32_e32 v99, v111, v33
	;; [unrolled: 1-line block ×6, first 2 shown]
	v_fma_f32 v34, v68, v93, -v34
	v_fmac_f32_e32 v37, v28, v68
	v_fmac_f32_e32 v42, v30, v72
	v_fmac_f32_e32 v43, v23, v66
	v_fmac_f32_e32 v44, v25, v70
	v_fmac_f32_e32 v46, v27, v84
	v_fma_f32 v23, v70, v98, -v47
	v_fma_f32 v25, v84, v115, -v48
	;; [unrolled: 1-line block ×3, first 2 shown]
	s_waitcnt vmcnt(2)
	v_mul_f32_e32 v28, v10, v41
	s_waitcnt lgkmcnt(1)
	v_mul_f32_e32 v41, v119, v41
	v_mul_f32_e32 v48, v39, v112
	s_waitcnt vmcnt(1)
	v_mul_f32_e32 v55, v75, v97
	s_waitcnt vmcnt(0)
	v_mul_f32_e32 v66, v87, v114
	v_mul_f32_e32 v68, v24, v75
	v_mul_f32_e32 v70, v26, v87
	v_sub_f32_e32 v62, v4, v15
	v_add_f32_e32 v63, v4, v15
	v_add_f32_e32 v4, v17, v4
	;; [unrolled: 1-line block ×3, first 2 shown]
	v_sub_f32_e32 v96, v129, v130
	v_sub_f32_e32 v33, v33, v35
	v_fma_f32 v36, v72, v95, -v36
	v_mul_f32_e32 v30, v12, v77
	s_waitcnt lgkmcnt(0)
	v_mul_f32_e32 v47, v92, v77
	v_mul_f32_e32 v39, v22, v39
	v_fma_f32 v49, -0.5, v60, v49
	v_add_f32_e32 v60, v67, v3
	v_add_f32_e32 v21, v21, v45
	;; [unrolled: 1-line block ×3, first 2 shown]
	v_fma_f32 v67, -0.5, v82, v111
	v_fma_f32 v32, -0.5, v94, v32
	v_add_f32_e32 v35, v99, v35
	v_add_f32_e32 v29, v29, v31
	v_fma_f32 v71, -0.5, v100, v20
	v_add_f32_e32 v20, v61, v65
	v_add_f32_e32 v31, v101, v130
	v_sub_f32_e32 v65, v37, v42
	v_add_f32_e32 v72, v44, v46
	v_add_f32_e32 v77, v23, v25
	v_sub_f32_e32 v82, v44, v46
	v_add_f32_e32 v87, v37, v42
	v_add_f32_e32 v37, v19, v37
	;; [unrolled: 1-line block ×3, first 2 shown]
	v_fmac_f32_e32 v41, v10, v40
	v_fmac_f32_e32 v48, v22, v38
	;; [unrolled: 1-line block ×4, first 2 shown]
	v_fma_f32 v10, v74, v97, -v68
	v_fma_f32 v22, v86, v114, -v70
	v_add_f32_e32 v58, v0, v3
	v_sub_f32_e32 v0, v0, v3
	v_fma_f32 v17, -0.5, v63, v17
	v_add_f32_e32 v15, v4, v15
	v_fma_f32 v63, -0.5, v69, v13
	v_fma_f32 v69, -0.5, v85, v128
	v_sub_f32_e32 v75, v23, v25
	v_add_f32_e32 v84, v110, v34
	v_add_f32_e32 v85, v27, v23
	v_fma_f32 v92, v76, v92, -v30
	v_fmac_f32_e32 v47, v12, v76
	v_fma_f32 v26, v38, v112, -v39
	v_fmamk_f32 v39, v62, 0x3f5db3d7, v49
	v_fmac_f32_e32 v49, 0xbf5db3d7, v62
	v_sub_f32_e32 v3, v21, v45
	v_add_f32_e32 v12, v21, v45
	v_fmamk_f32 v21, v96, 0xbf5db3d7, v32
	v_sub_f32_e32 v24, v35, v29
	v_sub_f32_e32 v23, v20, v31
	v_add_f32_e32 v30, v35, v29
	v_add_f32_e32 v29, v20, v31
	v_fma_f32 v20, -0.5, v77, v27
	v_fma_f32 v62, -0.5, v87, v19
	v_add_f32_e32 v19, v37, v42
	v_add_f32_e32 v31, v44, v46
	;; [unrolled: 1-line block ×4, first 2 shown]
	v_fma_f32 v58, -0.5, v58, v108
	v_add_f32_e32 v61, v34, v36
	v_fma_f32 v28, v40, v119, -v28
	v_fmamk_f32 v38, v64, 0xbf5db3d7, v17
	v_sub_f32_e32 v4, v60, v15
	v_add_f32_e32 v13, v60, v15
	v_fmamk_f32 v15, v88, 0x3f5db3d7, v69
	v_fmac_f32_e32 v32, 0x3f5db3d7, v96
	v_add_f32_e32 v27, v84, v36
	v_sub_f32_e32 v40, v41, v47
	v_sub_f32_e32 v46, v55, v66
	v_add_f32_e32 v70, v41, v47
	v_add_f32_e32 v41, v8, v41
	;; [unrolled: 1-line block ×3, first 2 shown]
	v_mul_f32_e32 v77, -0.5, v21
	v_mul_f32_e32 v84, 0xbf5db3d7, v21
	v_fmamk_f32 v21, v82, 0xbf5db3d7, v20
	v_fmac_f32_e32 v20, 0x3f5db3d7, v82
	v_fma_f32 v82, -0.5, v42, v48
	v_fma_f32 v48, -0.5, v44, v26
	v_fmac_f32_e32 v17, 0x3f5db3d7, v64
	v_fmamk_f32 v68, v59, 0xbf5db3d7, v58
	v_fmac_f32_e32 v58, 0x3f5db3d7, v59
	v_fmamk_f32 v59, v0, 0x3f5db3d7, v63
	;; [unrolled: 2-line block ×4, first 2 shown]
	v_fmac_f32_e32 v71, 0xbf5db3d7, v33
	v_fma_f32 v60, -0.5, v61, v110
	v_fma_f32 v61, -0.5, v72, v43
	v_add_f32_e32 v25, v85, v25
	v_add_f32_e32 v33, v28, v92
	v_sub_f32_e32 v43, v10, v22
	v_mul_f32_e32 v72, -0.5, v38
	v_mul_f32_e32 v85, 0xbf5db3d7, v32
	v_fma_f32 v8, -0.5, v70, v8
	v_add_f32_e32 v70, v41, v47
	v_fmac_f32_e32 v77, 0x3f5db3d7, v15
	v_fmamk_f32 v47, v46, 0xbf5db3d7, v48
	v_mul_f32_e32 v74, 0.5, v17
	v_mul_f32_e32 v17, 0xbf5db3d7, v17
	v_fmac_f32_e32 v67, 0x3f5db3d7, v83
	v_add_f32_e32 v64, v117, v28
	v_mul_f32_e32 v83, 0.5, v32
	v_fmamk_f32 v87, v75, 0x3f5db3d7, v61
	v_fmac_f32_e32 v61, 0xbf5db3d7, v75
	v_fma_f32 v75, -0.5, v33, v117
	v_fmac_f32_e32 v72, 0x3f5db3d7, v39
	v_fmac_f32_e32 v85, 0.5, v69
	v_fmamk_f32 v88, v43, 0x3f5db3d7, v82
	v_fmac_f32_e32 v48, 0x3f5db3d7, v46
	v_sub_f32_e32 v32, v0, v77
	v_add_f32_e32 v42, v0, v77
	v_mul_f32_e32 v0, -0.5, v47
	v_fmac_f32_e32 v17, 0.5, v49
	v_mul_f32_e32 v124, v81, v89
	v_mul_f32_e32 v81, v18, v81
	v_sub_f32_e32 v34, v34, v36
	v_add_f32_e32 v10, v26, v10
	v_sub_f32_e32 v28, v28, v92
	v_mul_f32_e32 v76, 0xbf5db3d7, v38
	v_sub_f32_e32 v35, v19, v31
	v_add_f32_e32 v37, v19, v31
	v_add_f32_e32 v19, v64, v92
	;; [unrolled: 1-line block ×3, first 2 shown]
	v_fmac_f32_e32 v74, 0x3f5db3d7, v49
	v_fmac_f32_e32 v83, 0x3f5db3d7, v69
	v_fmac_f32_e32 v84, -0.5, v15
	v_mul_f32_e32 v15, -0.5, v21
	v_mul_f32_e32 v49, 0.5, v20
	v_mul_f32_e32 v64, 0xbf5db3d7, v21
	v_mul_f32_e32 v66, 0xbf5db3d7, v20
	v_fmamk_f32 v69, v40, 0xbf5db3d7, v75
	v_fmac_f32_e32 v82, 0xbf5db3d7, v43
	v_sub_f32_e32 v20, v68, v72
	v_add_f32_e32 v26, v68, v72
	v_sub_f32_e32 v33, v71, v85
	v_add_f32_e32 v43, v71, v85
	v_mul_f32_e32 v68, 0xbf5db3d7, v47
	v_mul_f32_e32 v71, 0xbf5db3d7, v48
	v_fmac_f32_e32 v0, 0x3f5db3d7, v88
	v_sub_f32_e32 v36, v27, v25
	v_add_f32_e32 v38, v27, v25
	v_sub_f32_e32 v21, v63, v17
	v_add_f32_e32 v27, v63, v17
	v_mul_f32_e32 v17, 0.5, v48
	v_mul_f32_e32 v125, v14, v51
	v_fmamk_f32 v86, v65, 0xbf5db3d7, v60
	v_fmac_f32_e32 v60, 0x3f5db3d7, v65
	v_fmamk_f32 v65, v34, 0x3f5db3d7, v62
	v_fmac_f32_e32 v62, 0xbf5db3d7, v34
	v_add_f32_e32 v10, v10, v22
	v_fmac_f32_e32 v76, -0.5, v39
	v_fmamk_f32 v92, v28, 0x3f5db3d7, v8
	v_fmac_f32_e32 v8, 0xbf5db3d7, v28
	v_sub_f32_e32 v34, v67, v83
	v_add_f32_e32 v44, v67, v83
	v_fmac_f32_e32 v15, 0x3f5db3d7, v87
	v_fmac_f32_e32 v49, 0x3f5db3d7, v61
	v_fmac_f32_e32 v64, -0.5, v87
	v_fmac_f32_e32 v66, 0.5, v61
	v_fmac_f32_e32 v68, -0.5, v88
	v_fmac_f32_e32 v71, 0.5, v82
	v_sub_f32_e32 v63, v69, v0
	v_add_f32_e32 v67, v69, v0
	v_fma_f32 v0, v80, v89, -v81
	v_fmac_f32_e32 v75, 0x3f5db3d7, v40
	v_fmac_f32_e32 v17, 0x3f5db3d7, v82
	v_sub_f32_e32 v40, v19, v10
	v_add_f32_e32 v10, v19, v10
	v_sub_f32_e32 v22, v58, v74
	v_sub_f32_e32 v19, v59, v76
	v_add_f32_e32 v28, v58, v74
	v_add_f32_e32 v25, v59, v76
	v_sub_f32_e32 v31, v45, v84
	v_add_f32_e32 v41, v45, v84
	v_sub_f32_e32 v46, v86, v15
	v_sub_f32_e32 v48, v60, v49
	;; [unrolled: 1-line block ×4, first 2 shown]
	v_add_f32_e32 v59, v86, v15
	v_add_f32_e32 v61, v60, v49
	v_add_f32_e32 v58, v65, v64
	v_add_f32_e32 v60, v62, v66
	v_sub_f32_e32 v62, v92, v68
	v_sub_f32_e32 v64, v8, v71
	v_add_f32_e32 v66, v92, v68
	v_add_f32_e32 v68, v8, v71
	v_fmac_f32_e32 v123, v16, v54
	v_fmac_f32_e32 v124, v18, v80
	v_fma_f32 v8, v50, v109, -v125
	v_add_f32_e32 v15, v5, v0
	v_mul_f32_e32 v121, v9, v53
	v_mul_f32_e32 v122, v11, v57
	v_sub_f32_e32 v65, v75, v17
	v_add_f32_e32 v69, v75, v17
	v_mul_f32_e32 v17, v51, v109
	v_fma_f32 v49, -0.5, v15, v8
	v_sub_f32_e32 v15, v123, v124
	v_fma_f32 v78, v52, v118, -v121
	v_fma_f32 v79, v56, v91, -v122
	v_mul_f32_e32 v16, v118, v53
	v_mul_f32_e32 v18, v91, v57
	v_fmac_f32_e32 v17, v14, v50
	v_add_f32_e32 v14, v123, v124
	v_fmamk_f32 v50, v15, 0xbf5db3d7, v49
	v_fmac_f32_e32 v49, 0x3f5db3d7, v15
	v_add_f32_e32 v73, v78, v79
	v_fmac_f32_e32 v16, v9, v52
	v_fmac_f32_e32 v18, v11, v56
	v_fma_f32 v11, -0.5, v14, v17
	v_sub_f32_e32 v14, v5, v0
	v_sub_f32_e32 v39, v70, v55
	v_add_f32_e32 v9, v70, v55
	v_mul_f32_e32 v55, 0.5, v49
	v_mul_f32_e32 v72, 0xbf5db3d7, v49
	v_mul_hi_u32 v49, 0xf2b9d649, v90
	v_fma_f32 v56, -0.5, v73, v116
	v_sub_f32_e32 v51, v16, v18
	v_fmamk_f32 v52, v14, 0x3f5db3d7, v11
	v_fmac_f32_e32 v11, 0xbf5db3d7, v14
	v_add_f32_e32 v14, v16, v18
	v_mul_f32_e32 v53, -0.5, v50
	v_fmamk_f32 v54, v51, 0xbf5db3d7, v56
	v_fmac_f32_e32 v56, 0x3f5db3d7, v51
	v_add_f32_e32 v51, v116, v78
	v_add_f32_e32 v5, v8, v5
	v_mul_f32_e32 v71, 0xbf5db3d7, v50
	v_fma_f32 v57, -0.5, v14, v7
	v_add_f32_e32 v7, v7, v16
	v_add_f32_e32 v16, v17, v123
	v_lshrrev_b32_e32 v49, 9, v49
	v_fmac_f32_e32 v53, 0x3f5db3d7, v52
	v_add_f32_e32 v70, v51, v79
	v_add_f32_e32 v0, v5, v0
	v_fmac_f32_e32 v71, -0.5, v52
	v_lshlrev_b64 v[51:52], 3, v[106:107]
	v_fmac_f32_e32 v55, 0x3f5db3d7, v11
	v_fmac_f32_e32 v72, 0.5, v11
	v_add_f32_e32 v11, v7, v18
	v_add_f32_e32 v18, v16, v124
	v_mul_u32_u24_e32 v49, 0x21c, v49
	v_sub_f32_e32 v8, v54, v53
	v_sub_f32_e32 v17, v70, v0
	v_add_f32_e32 v50, v54, v53
	v_add_f32_e32 v54, v70, v0
	v_lshlrev_b64 v[0:1], 3, v[1:2]
	v_sub_f32_e32 v16, v11, v18
	v_add_f32_e32 v53, v11, v18
	v_sub_nc_u32_e32 v11, v90, v49
	v_add_co_u32 v2, vcc_lo, s10, v51
	v_add_co_ci_u32_e32 v18, vcc_lo, s11, v52, vcc_lo
	v_lshlrev_b32_e32 v11, 3, v11
	v_add_co_u32 v2, vcc_lo, v2, v0
	v_add_nc_u32_e32 v73, 0x6c, v90
	v_sub_f32_e32 v14, v78, v79
	v_add_co_ci_u32_e32 v18, vcc_lo, v18, v1, vcc_lo
	v_add_co_u32 v0, vcc_lo, v2, v11
	v_mul_hi_u32 v11, 0xf2b9d649, v73
	v_fmamk_f32 v5, v14, 0x3f5db3d7, v57
	v_add_co_ci_u32_e32 v1, vcc_lo, 0, v18, vcc_lo
	v_sub_f32_e32 v15, v56, v55
	v_fmac_f32_e32 v57, 0xbf5db3d7, v14
	v_sub_f32_e32 v7, v5, v71
	v_add_f32_e32 v49, v5, v71
	v_lshrrev_b32_e32 v5, 9, v11
	global_store_dwordx2 v[0:1], v[53:54], off
	v_add_co_u32 v53, vcc_lo, 0x1000, v0
	v_add_co_ci_u32_e32 v54, vcc_lo, 0, v1, vcc_lo
	v_mul_u32_u24_e32 v11, 0x21c, v5
	v_add_f32_e32 v52, v56, v55
	v_add_co_u32 v55, vcc_lo, 0x2000, v0
	v_add_co_ci_u32_e32 v56, vcc_lo, 0, v1, vcc_lo
	v_sub_nc_u32_e32 v11, v73, v11
	v_add_co_u32 v70, vcc_lo, 0x3000, v0
	v_add_f32_e32 v51, v57, v72
	v_add_co_ci_u32_e32 v71, vcc_lo, 0, v1, vcc_lo
	v_mad_u32_u24 v5, 0xca8, v5, v11
	v_sub_f32_e32 v14, v57, v72
	v_add_co_u32 v72, vcc_lo, 0x4000, v0
	v_add_co_ci_u32_e32 v73, vcc_lo, 0, v1, vcc_lo
	global_store_dwordx2 v[53:54], v[51:52], off offset:224
	global_store_dwordx2 v[55:56], v[49:50], off offset:448
	;; [unrolled: 1-line block ×4, first 2 shown]
	v_lshlrev_b64 v[14:15], 3, v[5:6]
	v_add_co_u32 v0, vcc_lo, 0x5000, v0
	v_add_co_ci_u32_e32 v1, vcc_lo, 0, v1, vcc_lo
	v_add_nc_u32_e32 v11, 0xd8, v90
	v_add_co_u32 v14, vcc_lo, v2, v14
	v_add_co_ci_u32_e32 v15, vcc_lo, v18, v15, vcc_lo
	v_add_nc_u32_e32 v16, 0x21c, v5
	v_mov_b32_e32 v17, v6
	global_store_dwordx2 v[0:1], v[7:8], off offset:1120
	global_store_dwordx2 v[14:15], v[9:10], off
	v_mul_hi_u32 v10, 0xf2b9d649, v11
	v_add_nc_u32_e32 v49, 0x438, v5
	v_mov_b32_e32 v50, v6
	v_lshlrev_b64 v[16:17], 3, v[16:17]
	v_add_nc_u32_e32 v9, 0x654, v5
	v_add_nc_u32_e32 v14, 0x870, v5
	v_mov_b32_e32 v15, v6
	v_lshlrev_b64 v[0:1], 3, v[49:50]
	v_add_nc_u32_e32 v5, 0xa8c, v5
	v_add_co_u32 v7, vcc_lo, v2, v16
	v_lshrrev_b32_e32 v16, 9, v10
	v_add_co_ci_u32_e32 v8, vcc_lo, v18, v17, vcc_lo
	v_mov_b32_e32 v10, v6
	v_add_co_u32 v0, vcc_lo, v2, v0
	v_mul_u32_u24_e32 v17, 0x21c, v16
	v_add_co_ci_u32_e32 v1, vcc_lo, v18, v1, vcc_lo
	global_store_dwordx2 v[7:8], v[68:69], off
	v_lshlrev_b64 v[7:8], 3, v[9:10]
	v_sub_nc_u32_e32 v11, v11, v17
	global_store_dwordx2 v[0:1], v[66:67], off
	v_lshlrev_b64 v[0:1], 3, v[14:15]
	v_lshlrev_b64 v[9:10], 3, v[5:6]
	v_mov_b32_e32 v17, v6
	v_mad_u32_u24 v5, 0xca8, v16, v11
	v_add_co_u32 v7, vcc_lo, v2, v7
	v_add_co_ci_u32_e32 v8, vcc_lo, v18, v8, vcc_lo
	v_add_co_u32 v0, vcc_lo, v2, v0
	v_lshlrev_b64 v[14:15], 3, v[5:6]
	v_add_co_ci_u32_e32 v1, vcc_lo, v18, v1, vcc_lo
	v_add_co_u32 v9, vcc_lo, v2, v9
	v_add_co_ci_u32_e32 v10, vcc_lo, v18, v10, vcc_lo
	v_add_nc_u32_e32 v16, 0x21c, v5
	v_add_nc_u32_e32 v11, 0x144, v90
	v_add_co_u32 v14, vcc_lo, v2, v14
	v_add_co_ci_u32_e32 v15, vcc_lo, v18, v15, vcc_lo
	global_store_dwordx2 v[7:8], v[39:40], off
	global_store_dwordx2 v[0:1], v[64:65], off
	;; [unrolled: 1-line block ×4, first 2 shown]
	v_lshlrev_b64 v[0:1], 3, v[16:17]
	v_mul_hi_u32 v16, 0xf2b9d649, v11
	v_add_nc_u32_e32 v7, 0x438, v5
	v_mov_b32_e32 v8, v6
	v_add_nc_u32_e32 v9, 0x654, v5
	v_mov_b32_e32 v10, v6
	;; [unrolled: 2-line block ×3, first 2 shown]
	v_lshlrev_b64 v[7:8], 3, v[7:8]
	v_lshrrev_b32_e32 v37, 9, v16
	v_add_co_u32 v0, vcc_lo, v2, v0
	v_lshlrev_b64 v[9:10], 3, v[9:10]
	v_add_co_ci_u32_e32 v1, vcc_lo, v18, v1, vcc_lo
	v_mul_u32_u24_e32 v16, 0x21c, v37
	v_add_co_u32 v7, vcc_lo, v2, v7
	v_lshlrev_b64 v[14:15], 3, v[14:15]
	v_add_nc_u32_e32 v5, 0xa8c, v5
	v_sub_nc_u32_e32 v11, v11, v16
	v_add_co_ci_u32_e32 v8, vcc_lo, v18, v8, vcc_lo
	v_add_co_u32 v9, vcc_lo, v2, v9
	v_add_co_ci_u32_e32 v10, vcc_lo, v18, v10, vcc_lo
	v_lshlrev_b64 v[16:17], 3, v[5:6]
	v_mad_u32_u24 v5, 0xca8, v37, v11
	v_add_co_u32 v14, vcc_lo, v2, v14
	v_add_co_ci_u32_e32 v15, vcc_lo, v18, v15, vcc_lo
	global_store_dwordx2 v[0:1], v[60:61], off
	global_store_dwordx2 v[7:8], v[58:59], off
	;; [unrolled: 1-line block ×4, first 2 shown]
	v_add_nc_u32_e32 v7, 0x21c, v5
	v_mov_b32_e32 v8, v6
	v_add_nc_u32_e32 v11, 0x1b0, v90
	v_lshlrev_b64 v[0:1], 3, v[5:6]
	v_add_co_u32 v9, vcc_lo, v2, v16
	v_lshlrev_b64 v[7:8], 3, v[7:8]
	v_mul_hi_u32 v35, 0xf2b9d649, v11
	v_add_co_ci_u32_e32 v10, vcc_lo, v18, v17, vcc_lo
	v_add_co_u32 v0, vcc_lo, v2, v0
	v_add_nc_u32_e32 v14, 0x438, v5
	v_mov_b32_e32 v15, v6
	v_add_co_ci_u32_e32 v1, vcc_lo, v18, v1, vcc_lo
	v_add_co_u32 v7, vcc_lo, v2, v7
	v_add_nc_u32_e32 v16, 0x654, v5
	v_mov_b32_e32 v17, v6
	v_add_co_ci_u32_e32 v8, vcc_lo, v18, v8, vcc_lo
	global_store_dwordx2 v[9:10], v[45:46], off
	v_lshlrev_b64 v[9:10], 3, v[14:15]
	v_lshrrev_b32_e32 v14, 9, v35
	global_store_dwordx2 v[0:1], v[29:30], off
	global_store_dwordx2 v[7:8], v[43:44], off
	v_lshlrev_b64 v[0:1], 3, v[16:17]
	v_add_co_u32 v7, vcc_lo, v2, v9
	v_mul_u32_u24_e32 v15, 0x21c, v14
	v_add_co_ci_u32_e32 v8, vcc_lo, v18, v10, vcc_lo
	v_add_nc_u32_e32 v9, 0x870, v5
	v_mov_b32_e32 v10, v6
	v_add_co_u32 v0, vcc_lo, v2, v0
	v_add_nc_u32_e32 v5, 0xa8c, v5
	v_sub_nc_u32_e32 v11, v11, v15
	v_add_co_ci_u32_e32 v1, vcc_lo, v18, v1, vcc_lo
	v_lshlrev_b64 v[9:10], 3, v[9:10]
	global_store_dwordx2 v[7:8], v[41:42], off
	global_store_dwordx2 v[0:1], v[23:24], off
	v_lshlrev_b64 v[0:1], 3, v[5:6]
	v_mad_u32_u24 v5, 0xca8, v14, v11
	v_mov_b32_e32 v15, v6
	v_add_co_u32 v7, vcc_lo, v2, v9
	v_add_co_ci_u32_e32 v8, vcc_lo, v18, v10, vcc_lo
	v_lshlrev_b64 v[9:10], 3, v[5:6]
	v_add_co_u32 v0, vcc_lo, v2, v0
	v_add_co_ci_u32_e32 v1, vcc_lo, v18, v1, vcc_lo
	v_add_nc_u32_e32 v14, 0x21c, v5
	v_add_co_u32 v9, vcc_lo, v2, v9
	v_add_co_ci_u32_e32 v10, vcc_lo, v18, v10, vcc_lo
	v_add_nc_u32_e32 v16, 0x438, v5
	global_store_dwordx2 v[7:8], v[33:34], off
	global_store_dwordx2 v[0:1], v[31:32], off
	v_lshlrev_b64 v[0:1], 3, v[14:15]
	global_store_dwordx2 v[9:10], v[12:13], off
	v_add_nc_u32_e32 v9, 0x654, v5
	v_mov_b32_e32 v10, v6
	v_lshlrev_b64 v[7:8], 3, v[16:17]
	v_add_nc_u32_e32 v11, 0x870, v5
	v_mov_b32_e32 v12, v6
	v_add_co_u32 v0, vcc_lo, v2, v0
	v_lshlrev_b64 v[9:10], 3, v[9:10]
	v_add_nc_u32_e32 v5, 0xa8c, v5
	v_add_co_ci_u32_e32 v1, vcc_lo, v18, v1, vcc_lo
	v_add_co_u32 v7, vcc_lo, v2, v7
	v_lshlrev_b64 v[11:12], 3, v[11:12]
	v_add_co_ci_u32_e32 v8, vcc_lo, v18, v8, vcc_lo
	v_add_co_u32 v9, vcc_lo, v2, v9
	v_lshlrev_b64 v[5:6], 3, v[5:6]
	v_add_co_ci_u32_e32 v10, vcc_lo, v18, v10, vcc_lo
	v_add_co_u32 v11, vcc_lo, v2, v11
	v_add_co_ci_u32_e32 v12, vcc_lo, v18, v12, vcc_lo
	v_add_co_u32 v5, vcc_lo, v2, v5
	v_add_co_ci_u32_e32 v6, vcc_lo, v18, v6, vcc_lo
	global_store_dwordx2 v[0:1], v[27:28], off
	global_store_dwordx2 v[7:8], v[25:26], off
	;; [unrolled: 1-line block ×5, first 2 shown]
.LBB0_15:
	s_endpgm
	.section	.rodata,"a",@progbits
	.p2align	6, 0x0
	.amdhsa_kernel fft_rtc_back_len3240_factors_3_3_10_6_6_wgs_108_tpt_108_halfLds_sp_op_CI_CI_unitstride_sbrr_dirReg
		.amdhsa_group_segment_fixed_size 0
		.amdhsa_private_segment_fixed_size 0
		.amdhsa_kernarg_size 104
		.amdhsa_user_sgpr_count 6
		.amdhsa_user_sgpr_private_segment_buffer 1
		.amdhsa_user_sgpr_dispatch_ptr 0
		.amdhsa_user_sgpr_queue_ptr 0
		.amdhsa_user_sgpr_kernarg_segment_ptr 1
		.amdhsa_user_sgpr_dispatch_id 0
		.amdhsa_user_sgpr_flat_scratch_init 0
		.amdhsa_user_sgpr_private_segment_size 0
		.amdhsa_wavefront_size32 1
		.amdhsa_uses_dynamic_stack 0
		.amdhsa_system_sgpr_private_segment_wavefront_offset 0
		.amdhsa_system_sgpr_workgroup_id_x 1
		.amdhsa_system_sgpr_workgroup_id_y 0
		.amdhsa_system_sgpr_workgroup_id_z 0
		.amdhsa_system_sgpr_workgroup_info 0
		.amdhsa_system_vgpr_workitem_id 0
		.amdhsa_next_free_vgpr 153
		.amdhsa_next_free_sgpr 27
		.amdhsa_reserve_vcc 1
		.amdhsa_reserve_flat_scratch 0
		.amdhsa_float_round_mode_32 0
		.amdhsa_float_round_mode_16_64 0
		.amdhsa_float_denorm_mode_32 3
		.amdhsa_float_denorm_mode_16_64 3
		.amdhsa_dx10_clamp 1
		.amdhsa_ieee_mode 1
		.amdhsa_fp16_overflow 0
		.amdhsa_workgroup_processor_mode 1
		.amdhsa_memory_ordered 1
		.amdhsa_forward_progress 0
		.amdhsa_shared_vgpr_count 0
		.amdhsa_exception_fp_ieee_invalid_op 0
		.amdhsa_exception_fp_denorm_src 0
		.amdhsa_exception_fp_ieee_div_zero 0
		.amdhsa_exception_fp_ieee_overflow 0
		.amdhsa_exception_fp_ieee_underflow 0
		.amdhsa_exception_fp_ieee_inexact 0
		.amdhsa_exception_int_div_zero 0
	.end_amdhsa_kernel
	.text
.Lfunc_end0:
	.size	fft_rtc_back_len3240_factors_3_3_10_6_6_wgs_108_tpt_108_halfLds_sp_op_CI_CI_unitstride_sbrr_dirReg, .Lfunc_end0-fft_rtc_back_len3240_factors_3_3_10_6_6_wgs_108_tpt_108_halfLds_sp_op_CI_CI_unitstride_sbrr_dirReg
                                        ; -- End function
	.section	.AMDGPU.csdata,"",@progbits
; Kernel info:
; codeLenInByte = 16720
; NumSgprs: 29
; NumVgprs: 153
; ScratchSize: 0
; MemoryBound: 0
; FloatMode: 240
; IeeeMode: 1
; LDSByteSize: 0 bytes/workgroup (compile time only)
; SGPRBlocks: 3
; VGPRBlocks: 19
; NumSGPRsForWavesPerEU: 29
; NumVGPRsForWavesPerEU: 153
; Occupancy: 6
; WaveLimiterHint : 1
; COMPUTE_PGM_RSRC2:SCRATCH_EN: 0
; COMPUTE_PGM_RSRC2:USER_SGPR: 6
; COMPUTE_PGM_RSRC2:TRAP_HANDLER: 0
; COMPUTE_PGM_RSRC2:TGID_X_EN: 1
; COMPUTE_PGM_RSRC2:TGID_Y_EN: 0
; COMPUTE_PGM_RSRC2:TGID_Z_EN: 0
; COMPUTE_PGM_RSRC2:TIDIG_COMP_CNT: 0
	.text
	.p2alignl 6, 3214868480
	.fill 48, 4, 3214868480
	.type	__hip_cuid_bbedc5da99b26a92,@object ; @__hip_cuid_bbedc5da99b26a92
	.section	.bss,"aw",@nobits
	.globl	__hip_cuid_bbedc5da99b26a92
__hip_cuid_bbedc5da99b26a92:
	.byte	0                               ; 0x0
	.size	__hip_cuid_bbedc5da99b26a92, 1

	.ident	"AMD clang version 19.0.0git (https://github.com/RadeonOpenCompute/llvm-project roc-6.4.0 25133 c7fe45cf4b819c5991fe208aaa96edf142730f1d)"
	.section	".note.GNU-stack","",@progbits
	.addrsig
	.addrsig_sym __hip_cuid_bbedc5da99b26a92
	.amdgpu_metadata
---
amdhsa.kernels:
  - .args:
      - .actual_access:  read_only
        .address_space:  global
        .offset:         0
        .size:           8
        .value_kind:     global_buffer
      - .offset:         8
        .size:           8
        .value_kind:     by_value
      - .actual_access:  read_only
        .address_space:  global
        .offset:         16
        .size:           8
        .value_kind:     global_buffer
      - .actual_access:  read_only
        .address_space:  global
        .offset:         24
        .size:           8
        .value_kind:     global_buffer
      - .actual_access:  read_only
        .address_space:  global
        .offset:         32
        .size:           8
        .value_kind:     global_buffer
      - .offset:         40
        .size:           8
        .value_kind:     by_value
      - .actual_access:  read_only
        .address_space:  global
        .offset:         48
        .size:           8
        .value_kind:     global_buffer
      - .actual_access:  read_only
        .address_space:  global
        .offset:         56
        .size:           8
        .value_kind:     global_buffer
      - .offset:         64
        .size:           4
        .value_kind:     by_value
      - .actual_access:  read_only
        .address_space:  global
        .offset:         72
        .size:           8
        .value_kind:     global_buffer
      - .actual_access:  read_only
        .address_space:  global
        .offset:         80
        .size:           8
        .value_kind:     global_buffer
      - .actual_access:  read_only
        .address_space:  global
        .offset:         88
        .size:           8
        .value_kind:     global_buffer
      - .actual_access:  write_only
        .address_space:  global
        .offset:         96
        .size:           8
        .value_kind:     global_buffer
    .group_segment_fixed_size: 0
    .kernarg_segment_align: 8
    .kernarg_segment_size: 104
    .language:       OpenCL C
    .language_version:
      - 2
      - 0
    .max_flat_workgroup_size: 108
    .name:           fft_rtc_back_len3240_factors_3_3_10_6_6_wgs_108_tpt_108_halfLds_sp_op_CI_CI_unitstride_sbrr_dirReg
    .private_segment_fixed_size: 0
    .sgpr_count:     29
    .sgpr_spill_count: 0
    .symbol:         fft_rtc_back_len3240_factors_3_3_10_6_6_wgs_108_tpt_108_halfLds_sp_op_CI_CI_unitstride_sbrr_dirReg.kd
    .uniform_work_group_size: 1
    .uses_dynamic_stack: false
    .vgpr_count:     153
    .vgpr_spill_count: 0
    .wavefront_size: 32
    .workgroup_processor_mode: 1
amdhsa.target:   amdgcn-amd-amdhsa--gfx1030
amdhsa.version:
  - 1
  - 2
...

	.end_amdgpu_metadata
